;; amdgpu-corpus repo=ROCm/rocFFT kind=compiled arch=gfx906 opt=O3
	.text
	.amdgcn_target "amdgcn-amd-amdhsa--gfx906"
	.amdhsa_code_object_version 6
	.protected	bluestein_single_back_len1008_dim1_dp_op_CI_CI ; -- Begin function bluestein_single_back_len1008_dim1_dp_op_CI_CI
	.globl	bluestein_single_back_len1008_dim1_dp_op_CI_CI
	.p2align	8
	.type	bluestein_single_back_len1008_dim1_dp_op_CI_CI,@function
bluestein_single_back_len1008_dim1_dp_op_CI_CI: ; @bluestein_single_back_len1008_dim1_dp_op_CI_CI
; %bb.0:
	s_load_dwordx4 s[16:19], s[4:5], 0x28
	s_mov_b64 s[30:31], s[2:3]
	v_mul_u32_u24_e32 v1, 0x493, v0
	s_mov_b64 s[28:29], s[0:1]
	v_add_u32_sdwa v4, s6, v1 dst_sel:DWORD dst_unused:UNUSED_PAD src0_sel:DWORD src1_sel:WORD_1
	v_mov_b32_e32 v5, 0
	s_add_u32 s28, s28, s7
	s_waitcnt lgkmcnt(0)
	v_cmp_gt_u64_e32 vcc, s[16:17], v[4:5]
	s_addc_u32 s29, s29, 0
	s_and_saveexec_b64 s[0:1], vcc
	s_cbranch_execz .LBB0_10
; %bb.1:
	s_load_dwordx4 s[0:3], s[4:5], 0x18
	s_load_dwordx4 s[12:15], s[4:5], 0x0
	v_mov_b32_e32 v2, 56
	v_mul_lo_u16_sdwa v1, v1, v2 dst_sel:DWORD dst_unused:UNUSED_PAD src0_sel:WORD_1 src1_sel:DWORD
	v_sub_u16_e32 v69, v0, v1
	s_waitcnt lgkmcnt(0)
	s_load_dwordx4 s[8:11], s[0:1], 0x0
	v_mov_b32_e32 v5, v4
	buffer_store_dword v5, off, s[28:31], 0 offset:96 ; 4-byte Folded Spill
	s_nop 0
	buffer_store_dword v6, off, s[28:31], 0 offset:100 ; 4-byte Folded Spill
	v_lshlrev_b32_e32 v68, 4, v69
	s_movk_i32 s6, 0x1000
	s_waitcnt lgkmcnt(0)
	v_mad_u64_u32 v[0:1], s[0:1], s10, v4, 0
	v_mad_u64_u32 v[2:3], s[0:1], s8, v69, 0
	global_load_dwordx4 v[46:49], v68, s[12:13]
	s_mul_hi_u32 s7, s8, 0xffffe400
	v_mad_u64_u32 v[4:5], s[0:1], s11, v4, v[1:2]
	s_sub_i32 s7, s7, s8
	s_movk_i32 s10, 0x2000
	v_mad_u64_u32 v[5:6], s[0:1], s9, v69, v[3:4]
	v_mov_b32_e32 v1, v4
	v_lshlrev_b64 v[0:1], 4, v[0:1]
	v_mov_b32_e32 v3, v5
	v_mov_b32_e32 v6, s19
	v_add_co_u32_e32 v0, vcc, s18, v0
	v_lshlrev_b64 v[2:3], 4, v[2:3]
	v_addc_co_u32_e32 v1, vcc, v6, v1, vcc
	v_add_co_u32_e32 v12, vcc, v0, v2
	v_addc_co_u32_e32 v13, vcc, v1, v3, vcc
	v_mov_b32_e32 v3, s13
	v_add_co_u32_e32 v2, vcc, s12, v68
	s_mul_i32 s0, s9, 0x1f80
	s_mul_hi_u32 s1, s8, 0x1f80
	v_addc_co_u32_e32 v3, vcc, 0, v3, vcc
	s_add_i32 s0, s1, s0
	s_mul_i32 s1, s8, 0x1f80
	v_mov_b32_e32 v4, s0
	v_add_co_u32_e32 v14, vcc, s1, v12
	v_addc_co_u32_e32 v15, vcc, v13, v4, vcc
	v_add_co_u32_e32 v52, vcc, s6, v2
	v_addc_co_u32_e32 v53, vcc, 0, v3, vcc
	global_load_dwordx4 v[4:7], v[12:13], off
	global_load_dwordx4 v[8:11], v[14:15], off
	global_load_dwordx4 v[42:45], v[52:53], off offset:3968
	s_mul_i32 s6, s9, 0xffffe400
	s_add_i32 s7, s7, s6
	s_mul_i32 s6, s8, 0xffffe400
	v_mov_b32_e32 v13, s7
	v_add_co_u32_e32 v12, vcc, s6, v14
	v_addc_co_u32_e32 v13, vcc, v15, v13, vcc
	v_add_co_u32_e32 v40, vcc, s10, v2
	v_addc_co_u32_e32 v41, vcc, 0, v3, vcc
	v_mov_b32_e32 v14, s0
	v_add_co_u32_e32 v16, vcc, s1, v12
	v_addc_co_u32_e32 v17, vcc, v13, v14, vcc
	v_mov_b32_e32 v18, s7
	;; [unrolled: 3-line block ×4, first 2 shown]
	v_add_co_u32_e32 v28, vcc, s6, v24
	v_addc_co_u32_e32 v29, vcc, v25, v26, vcc
	global_load_dwordx4 v[84:87], v68, s[12:13] offset:896
	global_load_dwordx4 v[72:75], v[12:13], off
	global_load_dwordx4 v[88:91], v68, s[12:13] offset:1792
	global_load_dwordx4 v[92:95], v68, s[12:13] offset:2688
	global_load_dwordx4 v[100:103], v[40:41], off offset:768
	global_load_dwordx4 v[96:99], v[40:41], off offset:1664
	;; [unrolled: 1-line block ×3, first 2 shown]
	global_load_dwordx4 v[12:15], v[16:17], off
	v_mov_b32_e32 v39, s0
	global_load_dwordx4 v[16:19], v[20:21], off
	v_add_co_u32_e32 v38, vcc, s1, v28
	global_load_dwordx4 v[20:23], v[24:25], off
	v_addc_co_u32_e32 v39, vcc, v29, v39, vcc
	global_load_dwordx4 v[24:27], v[28:29], off
	s_movk_i32 s10, 0x3000
	v_mov_b32_e32 v50, s7
	v_or_b32_e32 v67, 0x380, v69
	v_mov_b32_e32 v59, s7
	v_or_b32_e32 v108, 0x1c0, v69
                                        ; implicit-def: $vgpr244_vgpr245
                                        ; implicit-def: $vgpr248_vgpr249
	s_waitcnt vmcnt(13)
	v_mul_f64 v[30:31], v[6:7], v[48:49]
	v_mul_f64 v[32:33], v[4:5], v[48:49]
	s_waitcnt vmcnt(11)
	v_mul_f64 v[34:35], v[10:11], v[44:45]
	v_mul_f64 v[36:37], v[8:9], v[44:45]
	v_fma_f64 v[4:5], v[4:5], v[46:47], v[30:31]
	buffer_store_dword v46, off, s[28:31], 0 offset:120 ; 4-byte Folded Spill
	s_nop 0
	buffer_store_dword v47, off, s[28:31], 0 offset:124 ; 4-byte Folded Spill
	buffer_store_dword v48, off, s[28:31], 0 offset:128 ; 4-byte Folded Spill
	;; [unrolled: 1-line block ×3, first 2 shown]
	v_fma_f64 v[8:9], v[8:9], v[42:43], v[34:35]
	buffer_store_dword v42, off, s[28:31], 0 ; 4-byte Folded Spill
	s_nop 0
	buffer_store_dword v43, off, s[28:31], 0 offset:4 ; 4-byte Folded Spill
	buffer_store_dword v44, off, s[28:31], 0 offset:8 ; 4-byte Folded Spill
	;; [unrolled: 1-line block ×3, first 2 shown]
	global_load_dwordx4 v[28:31], v[38:39], off
	s_waitcnt vmcnt(18)
	v_mul_f64 v[65:66], v[74:75], v[86:87]
	v_mul_f64 v[70:71], v[72:73], v[86:87]
	v_fma_f64 v[6:7], v[6:7], v[46:47], -v[32:33]
	v_mov_b32_e32 v32, s7
	v_fma_f64 v[10:11], v[10:11], v[42:43], -v[36:37]
	v_add_co_u32_e32 v36, vcc, s6, v38
	v_addc_co_u32_e32 v37, vcc, v39, v32, vcc
	v_mov_b32_e32 v38, s0
	v_add_co_u32_e32 v42, vcc, s1, v36
	v_addc_co_u32_e32 v43, vcc, v37, v38, vcc
	global_load_dwordx4 v[32:35], v[36:37], off
	global_load_dwordx4 v[117:120], v68, s[12:13] offset:3584
	s_nop 0
	global_load_dwordx4 v[36:39], v[42:43], off
	global_load_dwordx4 v[141:144], v[40:41], off offset:2560
	global_load_dwordx4 v[113:116], v[40:41], off offset:3456
	v_mov_b32_e32 v40, s7
	v_add_co_u32_e32 v44, vcc, s6, v42
	v_addc_co_u32_e32 v45, vcc, v43, v40, vcc
	v_mov_b32_e32 v46, s0
	v_add_co_u32_e32 v48, vcc, s1, v44
	v_addc_co_u32_e32 v49, vcc, v45, v46, vcc
	v_add_co_u32_e32 v2, vcc, s10, v2
	v_addc_co_u32_e32 v3, vcc, 0, v3, vcc
	v_add_co_u32_e32 v54, vcc, s6, v48
	v_addc_co_u32_e32 v55, vcc, v49, v50, vcc
	global_load_dwordx4 v[40:43], v[44:45], off
	v_add_co_u32_e32 v56, vcc, s1, v54
	global_load_dwordx4 v[44:47], v[48:49], off
	s_nop 0
	global_load_dwordx4 v[48:51], v[54:55], off
	global_load_dwordx4 v[129:132], v[52:53], off offset:384
	global_load_dwordx4 v[109:112], v[52:53], off offset:1280
	v_mov_b32_e32 v52, s0
	v_mad_u64_u32 v[61:62], s[0:1], s8, v67, 0
	v_addc_co_u32_e32 v57, vcc, v55, v52, vcc
	v_add_co_u32_e32 v80, vcc, s6, v56
	v_mov_b32_e32 v58, v62
	v_addc_co_u32_e32 v81, vcc, v57, v59, vcc
	global_load_dwordx4 v[52:55], v[56:57], off
	global_load_dwordx4 v[145:148], v[2:3], off offset:256
	global_load_dwordx4 v[121:124], v[2:3], off offset:1152
	v_mad_u64_u32 v[62:63], s[0:1], s9, v67, v[58:59]
	global_load_dwordx4 v[57:60], v[80:81], off
	v_mad_u64_u32 v[76:77], s[0:1], s8, v108, 0
	v_lshlrev_b64 v[61:62], 4, v[61:62]
	buffer_store_dword v67, off, s[28:31], 0 offset:136 ; 4-byte Folded Spill
	v_mov_b32_e32 v56, v77
	v_add_co_u32_e32 v61, vcc, v0, v61
	v_addc_co_u32_e32 v62, vcc, v1, v62, vcc
	global_load_dwordx4 v[61:64], v[61:62], off
	s_movk_i32 s6, 0xffd0
	s_waitcnt vmcnt(2)
	v_mad_u64_u32 v[77:78], s[0:1], s9, v108, v[56:57]
	v_lshlrev_b32_e32 v56, 4, v67
	buffer_store_dword v56, off, s[28:31], 0 offset:508 ; 4-byte Folded Spill
	v_lshlrev_b64 v[76:77], 4, v[76:77]
	global_load_dwordx4 v[125:128], v56, s[12:13]
	v_add_co_u32_e32 v0, vcc, v0, v76
	v_addc_co_u32_e32 v1, vcc, v1, v77, vcc
	global_load_dwordx4 v[76:79], v[0:1], off
	v_mov_b32_e32 v0, 0x2300
	v_mad_u64_u32 v[0:1], s[0:1], s8, v0, v[80:81]
	v_lshlrev_b32_e32 v56, 4, v108
	s_mul_i32 s0, s9, 0x2300
	buffer_store_dword v56, off, s[28:31], 0 offset:512 ; 4-byte Folded Spill
	v_add_u32_e32 v1, s0, v1
	global_load_dwordx4 v[133:136], v56, s[12:13]
	global_load_dwordx4 v[80:83], v[0:1], off
	global_load_dwordx4 v[137:140], v[2:3], off offset:2944
	v_mul_f64 v[0:1], v[14:15], v[102:103]
	s_load_dwordx4 s[8:11], s[2:3], 0x0
	ds_write_b128 v68, v[4:7]
	ds_write_b128 v68, v[8:11] offset:8064
	v_fma_f64 v[4:5], v[72:73], v[84:85], v[65:66]
	buffer_store_dword v84, off, s[28:31], 0 offset:16 ; 4-byte Folded Spill
	s_nop 0
	buffer_store_dword v85, off, s[28:31], 0 offset:20 ; 4-byte Folded Spill
	buffer_store_dword v86, off, s[28:31], 0 offset:24 ; 4-byte Folded Spill
	;; [unrolled: 1-line block ×3, first 2 shown]
	v_mul_f64 v[2:3], v[12:13], v[102:103]
	v_mul_f64 v[65:66], v[20:21], v[98:99]
	s_movk_i32 s0, 0x70
	v_fma_f64 v[8:9], v[12:13], v[100:101], v[0:1]
	buffer_store_dword v100, off, s[28:31], 0 offset:80 ; 4-byte Folded Spill
	s_nop 0
	buffer_store_dword v101, off, s[28:31], 0 offset:84 ; 4-byte Folded Spill
	buffer_store_dword v102, off, s[28:31], 0 offset:88 ; 4-byte Folded Spill
	;; [unrolled: 1-line block ×3, first 2 shown]
	v_mul_f64 v[0:1], v[18:19], v[90:91]
	v_mul_f64 v[12:13], v[16:17], v[90:91]
	v_add_co_u32_e32 v56, vcc, s0, v69
	s_movk_i32 s1, 0xa8
	s_movk_i32 s2, 0x2fc
	s_mov_b32 s3, 0xbfebb67a
	v_fma_f64 v[6:7], v[74:75], v[84:85], -v[70:71]
	v_fma_f64 v[10:11], v[14:15], v[100:101], -v[2:3]
	v_mul_f64 v[14:15], v[22:23], v[98:99]
	ds_write_b128 v68, v[4:7] offset:896
	ds_write_b128 v68, v[8:11] offset:8960
	v_fma_f64 v[4:5], v[16:17], v[88:89], v[0:1]
	buffer_store_dword v88, off, s[28:31], 0 offset:32 ; 4-byte Folded Spill
	s_nop 0
	buffer_store_dword v89, off, s[28:31], 0 offset:36 ; 4-byte Folded Spill
	buffer_store_dword v90, off, s[28:31], 0 offset:40 ; 4-byte Folded Spill
	;; [unrolled: 1-line block ×3, first 2 shown]
	v_fma_f64 v[8:9], v[20:21], v[96:97], v[14:15]
	buffer_store_dword v96, off, s[28:31], 0 offset:64 ; 4-byte Folded Spill
	s_nop 0
	buffer_store_dword v97, off, s[28:31], 0 offset:68 ; 4-byte Folded Spill
	buffer_store_dword v98, off, s[28:31], 0 offset:72 ; 4-byte Folded Spill
	;; [unrolled: 1-line block ×3, first 2 shown]
	v_mul_f64 v[0:1], v[26:27], v[94:95]
	v_mul_f64 v[14:15], v[30:31], v[143:144]
	;; [unrolled: 1-line block ×3, first 2 shown]
	s_waitcnt vmcnt(21)
	v_mul_f64 v[20:21], v[63:64], v[127:128]
	v_add_co_u32_e32 v3, vcc, 56, v69
	v_add_co_u32_e32 v2, vcc, s1, v69
	s_movk_i32 s1, 0xe0
	v_and_b32_e32 v67, 15, v3
	v_fma_f64 v[20:21], v[61:62], v[125:126], v[20:21]
	v_fma_f64 v[6:7], v[18:19], v[88:89], -v[12:13]
	v_mul_f64 v[12:13], v[24:25], v[94:95]
	v_fma_f64 v[10:11], v[22:23], v[96:97], -v[65:66]
	ds_write_b128 v68, v[4:7] offset:1792
	ds_write_b128 v68, v[8:11] offset:9856
	v_fma_f64 v[4:5], v[24:25], v[92:93], v[0:1]
	buffer_store_dword v92, off, s[28:31], 0 offset:48 ; 4-byte Folded Spill
	s_nop 0
	buffer_store_dword v93, off, s[28:31], 0 offset:52 ; 4-byte Folded Spill
	buffer_store_dword v94, off, s[28:31], 0 offset:56 ; 4-byte Folded Spill
	;; [unrolled: 1-line block ×3, first 2 shown]
	v_mul_f64 v[0:1], v[34:35], v[119:120]
	v_mul_f64 v[10:11], v[28:29], v[143:144]
	v_fma_f64 v[8:9], v[28:29], v[141:142], v[14:15]
	buffer_store_dword v141, off, s[28:31], 0 offset:272 ; 4-byte Folded Spill
	s_nop 0
	buffer_store_dword v142, off, s[28:31], 0 offset:276 ; 4-byte Folded Spill
	buffer_store_dword v143, off, s[28:31], 0 offset:280 ; 4-byte Folded Spill
	;; [unrolled: 1-line block ×3, first 2 shown]
	v_mul_f64 v[14:15], v[38:39], v[115:116]
	v_mul_f64 v[18:19], v[52:53], v[123:124]
	s_waitcnt vmcnt(26)
	v_mul_f64 v[24:25], v[78:79], v[135:136]
	s_waitcnt vmcnt(24)
	v_mul_f64 v[28:29], v[82:83], v[139:140]
	v_mul_f64 v[22:23], v[61:62], v[127:128]
	v_fma_f64 v[24:25], v[76:77], v[133:134], v[24:25]
	v_fma_f64 v[28:29], v[80:81], v[137:138], v[28:29]
	v_fma_f64 v[6:7], v[26:27], v[92:93], -v[12:13]
	v_mul_f64 v[12:13], v[32:33], v[119:120]
	v_mul_f64 v[26:27], v[76:77], v[135:136]
	v_fma_f64 v[10:11], v[30:31], v[141:142], -v[10:11]
	v_mul_f64 v[30:31], v[80:81], v[139:140]
	ds_write_b128 v68, v[4:7] offset:2688
	v_fma_f64 v[4:5], v[32:33], v[117:118], v[0:1]
	buffer_store_dword v117, off, s[28:31], 0 offset:176 ; 4-byte Folded Spill
	s_nop 0
	buffer_store_dword v118, off, s[28:31], 0 offset:180 ; 4-byte Folded Spill
	buffer_store_dword v119, off, s[28:31], 0 offset:184 ; 4-byte Folded Spill
	;; [unrolled: 1-line block ×3, first 2 shown]
	v_add_co_u32_e32 v1, vcc, s1, v69
	s_movk_i32 s1, 0x118
	v_add_co_u32_e32 v0, vcc, s1, v69
	s_movk_i32 s1, 0x7c
	v_fma_f64 v[6:7], v[34:35], v[117:118], -v[12:13]
	v_fma_f64 v[12:13], v[36:37], v[113:114], v[14:15]
	buffer_store_dword v113, off, s[28:31], 0 offset:160 ; 4-byte Folded Spill
	s_nop 0
	buffer_store_dword v114, off, s[28:31], 0 offset:164 ; 4-byte Folded Spill
	buffer_store_dword v115, off, s[28:31], 0 offset:168 ; 4-byte Folded Spill
	;; [unrolled: 1-line block ×3, first 2 shown]
	ds_write_b128 v68, v[8:11] offset:10752
	v_mul_f64 v[8:9], v[42:43], v[131:132]
	v_mul_f64 v[10:11], v[40:41], v[131:132]
	v_fma_f64 v[14:15], v[38:39], v[113:114], -v[16:17]
	ds_write_b128 v68, v[4:7] offset:3584
	ds_write_b128 v68, v[12:15] offset:11648
	v_fma_f64 v[4:5], v[40:41], v[129:130], v[8:9]
	buffer_store_dword v129, off, s[28:31], 0 offset:224 ; 4-byte Folded Spill
	s_nop 0
	buffer_store_dword v130, off, s[28:31], 0 offset:228 ; 4-byte Folded Spill
	buffer_store_dword v131, off, s[28:31], 0 offset:232 ; 4-byte Folded Spill
	;; [unrolled: 1-line block ×3, first 2 shown]
	v_mul_f64 v[8:9], v[46:47], v[147:148]
	v_mul_f64 v[12:13], v[50:51], v[111:112]
	;; [unrolled: 1-line block ×4, first 2 shown]
	v_fma_f64 v[6:7], v[42:43], v[129:130], -v[10:11]
	v_mul_f64 v[10:11], v[44:45], v[147:148]
	ds_write_b128 v68, v[4:7] offset:4480
	v_fma_f64 v[4:5], v[44:45], v[145:146], v[8:9]
	buffer_store_dword v145, off, s[28:31], 0 offset:288 ; 4-byte Folded Spill
	s_nop 0
	buffer_store_dword v146, off, s[28:31], 0 offset:292 ; 4-byte Folded Spill
	buffer_store_dword v147, off, s[28:31], 0 offset:296 ; 4-byte Folded Spill
	buffer_store_dword v148, off, s[28:31], 0 offset:300 ; 4-byte Folded Spill
	v_fma_f64 v[8:9], v[48:49], v[109:110], v[12:13]
	buffer_store_dword v109, off, s[28:31], 0 offset:144 ; 4-byte Folded Spill
	s_nop 0
	buffer_store_dword v110, off, s[28:31], 0 offset:148 ; 4-byte Folded Spill
	buffer_store_dword v111, off, s[28:31], 0 offset:152 ; 4-byte Folded Spill
	buffer_store_dword v112, off, s[28:31], 0 offset:156 ; 4-byte Folded Spill
	;; [unrolled: 6-line block ×3, first 2 shown]
	v_mul_f64 v[16:17], v[59:60], v[106:107]
	v_lshlrev_b32_e32 v53, 5, v69
	v_fma_f64 v[16:17], v[57:58], v[104:105], v[16:17]
	v_fma_f64 v[6:7], v[46:47], v[145:146], -v[10:11]
	v_fma_f64 v[10:11], v[50:51], v[109:110], -v[14:15]
	;; [unrolled: 1-line block ×3, first 2 shown]
	v_mul_f64 v[18:19], v[57:58], v[106:107]
	buffer_store_dword v104, off, s[28:31], 0 offset:104 ; 4-byte Folded Spill
	s_nop 0
	buffer_store_dword v105, off, s[28:31], 0 offset:108 ; 4-byte Folded Spill
	buffer_store_dword v106, off, s[28:31], 0 offset:112 ; 4-byte Folded Spill
	buffer_store_dword v107, off, s[28:31], 0 offset:116 ; 4-byte Folded Spill
	buffer_store_dword v125, off, s[28:31], 0 offset:208 ; 4-byte Folded Spill
	s_nop 0
	buffer_store_dword v126, off, s[28:31], 0 offset:212 ; 4-byte Folded Spill
	buffer_store_dword v127, off, s[28:31], 0 offset:216 ; 4-byte Folded Spill
	buffer_store_dword v128, off, s[28:31], 0 offset:220 ; 4-byte Folded Spill
	;; [unrolled: 5-line block ×4, first 2 shown]
	ds_write_b128 v68, v[4:7] offset:12544
	ds_write_b128 v68, v[8:11] offset:5376
	;; [unrolled: 1-line block ×3, first 2 shown]
	v_lshlrev_b32_e32 v4, 1, v69
	v_and_b32_e32 v55, 1, v69
	v_fma_f64 v[18:19], v[59:60], v[104:105], -v[18:19]
	v_fma_f64 v[22:23], v[63:64], v[125:126], -v[22:23]
	;; [unrolled: 1-line block ×4, first 2 shown]
	ds_write_b128 v68, v[16:19] offset:6272
	ds_write_b128 v68, v[20:23] offset:14336
	ds_write_b128 v68, v[24:27] offset:7168
	ds_write_b128 v68, v[28:31] offset:15232
	s_waitcnt lgkmcnt(0)
	; wave barrier
	s_waitcnt lgkmcnt(0)
	ds_read_b128 v[5:8], v68 offset:8064
	ds_read_b128 v[9:12], v68
	ds_read_b128 v[13:16], v68 offset:896
	ds_read_b128 v[17:20], v68 offset:8960
	;; [unrolled: 1-line block ×10, first 2 shown]
	s_waitcnt lgkmcnt(10)
	v_add_f64 v[5:6], v[9:10], -v[5:6]
	v_add_f64 v[7:8], v[11:12], -v[7:8]
	s_waitcnt lgkmcnt(8)
	v_add_f64 v[17:18], v[13:14], -v[17:18]
	v_add_f64 v[19:20], v[15:16], -v[19:20]
	;; [unrolled: 3-line block ×4, first 2 shown]
	ds_read_b128 v[57:60], v68 offset:12544
	ds_read_b128 v[61:64], v68 offset:13440
	;; [unrolled: 1-line block ×6, first 2 shown]
	s_waitcnt lgkmcnt(8)
	v_add_f64 v[37:38], v[41:42], -v[37:38]
	v_add_f64 v[39:40], v[43:44], -v[39:40]
	s_waitcnt lgkmcnt(5)
	v_add_f64 v[57:58], v[45:46], -v[57:58]
	v_add_f64 v[59:60], v[47:48], -v[59:60]
	v_fma_f64 v[9:10], v[9:10], 2.0, -v[5:6]
	v_fma_f64 v[11:12], v[11:12], 2.0, -v[7:8]
	s_waitcnt lgkmcnt(3)
	v_add_f64 v[61:62], v[70:71], -v[61:62]
	v_add_f64 v[63:64], v[72:73], -v[63:64]
	s_waitcnt lgkmcnt(1)
	v_add_f64 v[78:79], v[74:75], -v[78:79]
	v_add_f64 v[80:81], v[76:77], -v[80:81]
	v_fma_f64 v[13:14], v[13:14], 2.0, -v[17:18]
	v_fma_f64 v[15:16], v[15:16], 2.0, -v[19:20]
	s_waitcnt lgkmcnt(0)
	v_add_f64 v[82:83], v[49:50], -v[82:83]
	v_add_f64 v[84:85], v[51:52], -v[84:85]
	v_fma_f64 v[25:26], v[25:26], 2.0, -v[21:22]
	v_fma_f64 v[27:28], v[27:28], 2.0, -v[23:24]
	;; [unrolled: 1-line block ×12, first 2 shown]
	s_waitcnt lgkmcnt(0)
	; wave barrier
	ds_write_b128 v53, v[9:12]
	ds_write_b128 v53, v[5:8] offset:16
	v_lshlrev_b32_e32 v5, 5, v3
	v_fma_f64 v[49:50], v[49:50], 2.0, -v[82:83]
	v_fma_f64 v[51:52], v[51:52], 2.0, -v[84:85]
	ds_write_b128 v5, v[13:16]
	buffer_store_dword v5, off, s[28:31], 0 offset:476 ; 4-byte Folded Spill
	ds_write_b128 v5, v[17:20] offset:16
	v_lshlrev_b32_e32 v5, 5, v56
	ds_write_b128 v5, v[25:28]
	buffer_store_dword v5, off, s[28:31], 0 offset:480 ; 4-byte Folded Spill
	ds_write_b128 v5, v[21:24] offset:16
	v_lshlrev_b32_e32 v5, 5, v2
	ds_write_b128 v5, v[29:32]
	buffer_store_dword v5, off, s[28:31], 0 offset:484 ; 4-byte Folded Spill
	ds_write_b128 v5, v[33:36] offset:16
	v_lshlrev_b32_e32 v5, 5, v1
	ds_write_b128 v5, v[41:44]
	buffer_store_dword v5, off, s[28:31], 0 offset:488 ; 4-byte Folded Spill
	ds_write_b128 v5, v[37:40] offset:16
	v_lshlrev_b32_e32 v5, 5, v0
	ds_write_b128 v5, v[45:48]
	buffer_store_dword v5, off, s[28:31], 0 offset:492 ; 4-byte Folded Spill
	ds_write_b128 v5, v[57:60] offset:16
	v_add_u32_e32 v5, 0x2a0, v4
	v_lshlrev_b32_e32 v6, 4, v5
	v_lshlrev_b32_e32 v7, 4, v4
	buffer_store_dword v6, off, s[28:31], 0 offset:496 ; 4-byte Folded Spill
	ds_write_b128 v6, v[61:64] offset:16
	v_add_u32_e32 v6, 0x310, v4
	ds_write_b128 v7, v[70:73] offset:10752
	v_lshlrev_b32_e32 v8, 4, v6
	ds_write_b128 v7, v[74:77] offset:12544
	v_lshlrev_b32_e32 v7, 5, v108
	ds_write_b128 v8, v[78:81] offset:16
	ds_write_b128 v7, v[49:52]
	buffer_store_dword v7, off, s[28:31], 0 offset:504 ; 4-byte Folded Spill
	ds_write_b128 v7, v[82:85] offset:16
	v_lshlrev_b32_e32 v7, 4, v55
	buffer_store_dword v8, off, s[28:31], 0 offset:500 ; 4-byte Folded Spill
	s_waitcnt lgkmcnt(0)
	; wave barrier
	s_waitcnt lgkmcnt(0)
	global_load_dwordx4 v[228:231], v7, s[14:15]
	v_lshlrev_b32_e32 v12, 1, v3
	buffer_store_dword v108, off, s[28:31], 0 offset:140 ; 4-byte Folded Spill
	ds_read_b128 v[13:16], v68 offset:8064
	ds_read_b128 v[17:20], v68
	ds_read_b128 v[21:24], v68 offset:896
	ds_read_b128 v[25:28], v68 offset:8960
	;; [unrolled: 1-line block ×16, first 2 shown]
	s_waitcnt lgkmcnt(0)
	; wave barrier
	s_waitcnt lgkmcnt(0)
	v_lshlrev_b32_e32 v11, 1, v56
	v_lshlrev_b32_e32 v10, 1, v2
	;; [unrolled: 1-line block ×5, first 2 shown]
	s_waitcnt vmcnt(1)
	v_mul_f64 v[53:54], v[15:16], v[230:231]
	v_mul_f64 v[65:66], v[13:14], v[230:231]
	;; [unrolled: 1-line block ×8, first 2 shown]
	v_fma_f64 v[13:14], v[13:14], v[228:229], -v[53:54]
	v_fma_f64 v[15:16], v[15:16], v[228:229], v[65:66]
	v_mul_f64 v[53:54], v[31:32], v[230:231]
	v_mul_f64 v[65:66], v[29:30], v[230:231]
	v_fma_f64 v[25:26], v[25:26], v[228:229], -v[94:95]
	v_fma_f64 v[27:28], v[27:28], v[228:229], v[96:97]
	v_mul_f64 v[94:95], v[43:44], v[230:231]
	v_mul_f64 v[96:97], v[41:42], v[230:231]
	v_fma_f64 v[45:46], v[45:46], v[228:229], -v[98:99]
	v_fma_f64 v[47:48], v[47:48], v[228:229], v[100:101]
	v_fma_f64 v[29:30], v[29:30], v[228:229], -v[53:54]
	v_fma_f64 v[31:32], v[31:32], v[228:229], v[65:66]
	v_fma_f64 v[53:54], v[61:62], v[228:229], -v[102:103]
	v_mul_f64 v[61:62], v[72:73], v[230:231]
	v_mul_f64 v[65:66], v[70:71], v[230:231]
	v_fma_f64 v[41:42], v[41:42], v[228:229], -v[94:95]
	v_fma_f64 v[43:44], v[43:44], v[228:229], v[96:97]
	v_mul_f64 v[94:95], v[88:89], v[230:231]
	v_mul_f64 v[96:97], v[86:87], v[230:231]
	;; [unrolled: 1-line block ×4, first 2 shown]
	v_fma_f64 v[63:64], v[63:64], v[228:229], v[104:105]
	v_add_f64 v[13:14], v[17:18], -v[13:14]
	v_add_f64 v[15:16], v[19:20], -v[15:16]
	;; [unrolled: 1-line block ×4, first 2 shown]
	v_fma_f64 v[70:71], v[70:71], v[228:229], -v[61:62]
	v_fma_f64 v[65:66], v[72:73], v[228:229], v[65:66]
	v_add_f64 v[29:30], v[33:34], -v[29:30]
	v_add_f64 v[31:32], v[35:36], -v[31:32]
	v_fma_f64 v[86:87], v[86:87], v[228:229], -v[94:95]
	v_fma_f64 v[88:89], v[88:89], v[228:229], v[96:97]
	v_add_f64 v[41:42], v[37:38], -v[41:42]
	v_add_f64 v[43:44], v[39:40], -v[43:44]
	;; [unrolled: 4-line block ×3, first 2 shown]
	v_fma_f64 v[17:18], v[17:18], 2.0, -v[13:14]
	v_fma_f64 v[19:20], v[19:20], 2.0, -v[15:16]
	;; [unrolled: 1-line block ×4, first 2 shown]
	v_add_f64 v[61:62], v[57:58], -v[53:54]
	v_add_f64 v[63:64], v[59:60], -v[63:64]
	v_fma_f64 v[33:34], v[33:34], 2.0, -v[29:30]
	v_fma_f64 v[35:36], v[35:36], 2.0, -v[31:32]
	v_add_f64 v[70:71], v[78:79], -v[70:71]
	v_add_f64 v[72:73], v[80:81], -v[65:66]
	v_fma_f64 v[37:38], v[37:38], 2.0, -v[41:42]
	v_fma_f64 v[39:40], v[39:40], 2.0, -v[43:44]
	v_add_f64 v[86:87], v[82:83], -v[86:87]
	v_add_f64 v[88:89], v[84:85], -v[88:89]
	v_and_or_b32 v53, v4, s1, v55
	v_lshlrev_b32_e32 v53, 4, v53
	s_movk_i32 s1, 0xfc
	v_fma_f64 v[49:50], v[49:50], 2.0, -v[45:46]
	v_fma_f64 v[51:52], v[51:52], 2.0, -v[47:48]
	v_add_f64 v[90:91], v[74:75], -v[90:91]
	v_add_f64 v[92:93], v[76:77], -v[92:93]
	ds_write_b128 v53, v[13:16] offset:32
	v_and_or_b32 v13, v12, s1, v55
	v_lshlrev_b32_e32 v13, 4, v13
	s_movk_i32 s1, 0x1fc
	v_fma_f64 v[57:58], v[57:58], 2.0, -v[61:62]
	v_fma_f64 v[59:60], v[59:60], 2.0, -v[63:64]
	ds_write_b128 v53, v[17:20]
	ds_write_b128 v13, v[21:24]
	buffer_store_dword v13, off, s[28:31], 0 offset:444 ; 4-byte Folded Spill
	ds_write_b128 v13, v[25:28] offset:32
	v_and_or_b32 v13, v11, s1, v55
	v_lshlrev_b32_e32 v13, 4, v13
	v_fma_f64 v[78:79], v[78:79], 2.0, -v[70:71]
	v_fma_f64 v[80:81], v[80:81], 2.0, -v[72:73]
	ds_write_b128 v13, v[33:36]
	buffer_store_dword v13, off, s[28:31], 0 offset:448 ; 4-byte Folded Spill
	ds_write_b128 v13, v[29:32] offset:32
	v_and_or_b32 v13, v10, s1, v55
	v_lshlrev_b32_e32 v13, 4, v13
	s_movk_i32 s1, 0x3fc
	v_fma_f64 v[82:83], v[82:83], 2.0, -v[86:87]
	v_fma_f64 v[84:85], v[84:85], 2.0, -v[88:89]
	ds_write_b128 v13, v[37:40]
	buffer_store_dword v13, off, s[28:31], 0 offset:452 ; 4-byte Folded Spill
	ds_write_b128 v13, v[41:44] offset:32
	v_and_or_b32 v13, v9, s1, v55
	v_lshlrev_b32_e32 v13, 4, v13
	v_fma_f64 v[74:75], v[74:75], 2.0, -v[90:91]
	v_fma_f64 v[76:77], v[76:77], 2.0, -v[92:93]
	ds_write_b128 v13, v[49:52]
	buffer_store_dword v13, off, s[28:31], 0 offset:456 ; 4-byte Folded Spill
	ds_write_b128 v13, v[45:48] offset:32
	v_and_or_b32 v13, v8, s2, v55
	v_lshlrev_b32_e32 v13, 4, v13
	ds_write_b128 v13, v[57:60]
	buffer_store_dword v13, off, s[28:31], 0 offset:460 ; 4-byte Folded Spill
	ds_write_b128 v13, v[61:64] offset:32
	v_and_or_b32 v13, v5, s1, v55
	v_lshlrev_b32_e32 v13, 4, v13
	;; [unrolled: 5-line block ×4, first 2 shown]
	v_and_b32_e32 v55, 3, v69
	ds_write_b128 v13, v[74:77]
	buffer_store_dword v13, off, s[28:31], 0 offset:472 ; 4-byte Folded Spill
	ds_write_b128 v13, v[90:93] offset:32
	v_lshlrev_b32_e32 v13, 4, v55
	buffer_store_dword v53, off, s[28:31], 0 offset:440 ; 4-byte Folded Spill
	s_waitcnt lgkmcnt(0)
	; wave barrier
	s_waitcnt lgkmcnt(0)
	global_load_dwordx4 v[220:223], v13, s[14:15] offset:32
	ds_read_b128 v[13:16], v68 offset:8064
	ds_read_b128 v[17:20], v68
	ds_read_b128 v[21:24], v68 offset:896
	ds_read_b128 v[25:28], v68 offset:8960
	;; [unrolled: 1-line block ×16, first 2 shown]
	s_movk_i32 s1, 0x78
	s_waitcnt lgkmcnt(0)
	; wave barrier
	s_waitcnt lgkmcnt(0)
	s_movk_i32 s2, 0x2f8
	s_waitcnt vmcnt(0)
	v_mul_f64 v[53:54], v[15:16], v[222:223]
	v_mul_f64 v[65:66], v[13:14], v[222:223]
	;; [unrolled: 1-line block ×8, first 2 shown]
	v_fma_f64 v[13:14], v[13:14], v[220:221], -v[53:54]
	v_fma_f64 v[15:16], v[15:16], v[220:221], v[65:66]
	v_mul_f64 v[53:54], v[31:32], v[222:223]
	v_mul_f64 v[65:66], v[29:30], v[222:223]
	v_fma_f64 v[25:26], v[25:26], v[220:221], -v[94:95]
	v_fma_f64 v[27:28], v[27:28], v[220:221], v[96:97]
	v_mul_f64 v[94:95], v[43:44], v[222:223]
	v_mul_f64 v[96:97], v[41:42], v[222:223]
	v_fma_f64 v[45:46], v[45:46], v[220:221], -v[98:99]
	v_fma_f64 v[47:48], v[47:48], v[220:221], v[100:101]
	v_fma_f64 v[29:30], v[29:30], v[220:221], -v[53:54]
	v_fma_f64 v[31:32], v[31:32], v[220:221], v[65:66]
	v_fma_f64 v[53:54], v[61:62], v[220:221], -v[102:103]
	v_mul_f64 v[61:62], v[72:73], v[222:223]
	v_mul_f64 v[65:66], v[70:71], v[222:223]
	v_fma_f64 v[41:42], v[41:42], v[220:221], -v[94:95]
	v_fma_f64 v[43:44], v[43:44], v[220:221], v[96:97]
	v_mul_f64 v[94:95], v[88:89], v[222:223]
	v_mul_f64 v[96:97], v[86:87], v[222:223]
	;; [unrolled: 1-line block ×4, first 2 shown]
	v_fma_f64 v[63:64], v[63:64], v[220:221], v[104:105]
	v_add_f64 v[13:14], v[17:18], -v[13:14]
	v_add_f64 v[15:16], v[19:20], -v[15:16]
	;; [unrolled: 1-line block ×4, first 2 shown]
	v_fma_f64 v[70:71], v[70:71], v[220:221], -v[61:62]
	v_fma_f64 v[65:66], v[72:73], v[220:221], v[65:66]
	v_add_f64 v[29:30], v[33:34], -v[29:30]
	v_add_f64 v[31:32], v[35:36], -v[31:32]
	v_fma_f64 v[86:87], v[86:87], v[220:221], -v[94:95]
	v_fma_f64 v[88:89], v[88:89], v[220:221], v[96:97]
	v_add_f64 v[41:42], v[37:38], -v[41:42]
	v_add_f64 v[43:44], v[39:40], -v[43:44]
	;; [unrolled: 4-line block ×3, first 2 shown]
	v_fma_f64 v[17:18], v[17:18], 2.0, -v[13:14]
	v_fma_f64 v[19:20], v[19:20], 2.0, -v[15:16]
	;; [unrolled: 1-line block ×4, first 2 shown]
	v_add_f64 v[61:62], v[57:58], -v[53:54]
	v_add_f64 v[63:64], v[59:60], -v[63:64]
	v_fma_f64 v[33:34], v[33:34], 2.0, -v[29:30]
	v_fma_f64 v[35:36], v[35:36], 2.0, -v[31:32]
	v_add_f64 v[70:71], v[78:79], -v[70:71]
	v_add_f64 v[72:73], v[80:81], -v[65:66]
	v_fma_f64 v[37:38], v[37:38], 2.0, -v[41:42]
	v_fma_f64 v[39:40], v[39:40], 2.0, -v[43:44]
	v_add_f64 v[86:87], v[82:83], -v[86:87]
	v_add_f64 v[88:89], v[84:85], -v[88:89]
	v_and_or_b32 v53, v4, s1, v55
	v_lshlrev_b32_e32 v53, 4, v53
	s_movk_i32 s1, 0xf8
	v_fma_f64 v[49:50], v[49:50], 2.0, -v[45:46]
	v_fma_f64 v[51:52], v[51:52], 2.0, -v[47:48]
	v_add_f64 v[90:91], v[74:75], -v[90:91]
	v_add_f64 v[92:93], v[76:77], -v[92:93]
	ds_write_b128 v53, v[13:16] offset:64
	v_and_or_b32 v13, v12, s1, v55
	v_lshlrev_b32_e32 v13, 4, v13
	s_movk_i32 s1, 0x1f8
	v_fma_f64 v[57:58], v[57:58], 2.0, -v[61:62]
	v_fma_f64 v[59:60], v[59:60], 2.0, -v[63:64]
	ds_write_b128 v53, v[17:20]
	ds_write_b128 v13, v[21:24]
	buffer_store_dword v13, off, s[28:31], 0 offset:408 ; 4-byte Folded Spill
	ds_write_b128 v13, v[25:28] offset:64
	v_and_or_b32 v13, v11, s1, v55
	v_lshlrev_b32_e32 v13, 4, v13
	v_fma_f64 v[78:79], v[78:79], 2.0, -v[70:71]
	v_fma_f64 v[80:81], v[80:81], 2.0, -v[72:73]
	ds_write_b128 v13, v[33:36]
	buffer_store_dword v13, off, s[28:31], 0 offset:412 ; 4-byte Folded Spill
	ds_write_b128 v13, v[29:32] offset:64
	v_and_or_b32 v13, v10, s1, v55
	v_lshlrev_b32_e32 v13, 4, v13
	s_movk_i32 s1, 0x3f8
	v_fma_f64 v[82:83], v[82:83], 2.0, -v[86:87]
	v_fma_f64 v[84:85], v[84:85], 2.0, -v[88:89]
	ds_write_b128 v13, v[37:40]
	buffer_store_dword v13, off, s[28:31], 0 offset:416 ; 4-byte Folded Spill
	ds_write_b128 v13, v[41:44] offset:64
	v_and_or_b32 v13, v9, s1, v55
	v_lshlrev_b32_e32 v13, 4, v13
	v_fma_f64 v[74:75], v[74:75], 2.0, -v[90:91]
	v_fma_f64 v[76:77], v[76:77], 2.0, -v[92:93]
	ds_write_b128 v13, v[49:52]
	buffer_store_dword v13, off, s[28:31], 0 offset:420 ; 4-byte Folded Spill
	ds_write_b128 v13, v[45:48] offset:64
	v_and_or_b32 v13, v8, s2, v55
	v_lshlrev_b32_e32 v13, 4, v13
	ds_write_b128 v13, v[57:60]
	buffer_store_dword v13, off, s[28:31], 0 offset:424 ; 4-byte Folded Spill
	ds_write_b128 v13, v[61:64] offset:64
	v_and_or_b32 v13, v5, s1, v55
	v_lshlrev_b32_e32 v13, 4, v13
	;; [unrolled: 5-line block ×4, first 2 shown]
	v_and_b32_e32 v55, 7, v69
	ds_write_b128 v13, v[74:77]
	buffer_store_dword v13, off, s[28:31], 0 offset:436 ; 4-byte Folded Spill
	ds_write_b128 v13, v[90:93] offset:64
	v_lshlrev_b32_e32 v13, 4, v55
	buffer_store_dword v53, off, s[28:31], 0 offset:404 ; 4-byte Folded Spill
	s_waitcnt lgkmcnt(0)
	; wave barrier
	s_waitcnt lgkmcnt(0)
	global_load_dwordx4 v[196:199], v13, s[14:15] offset:96
	ds_read_b128 v[13:16], v68 offset:8064
	ds_read_b128 v[17:20], v68
	ds_read_b128 v[21:24], v68 offset:896
	ds_read_b128 v[25:28], v68 offset:8960
	;; [unrolled: 1-line block ×16, first 2 shown]
	v_and_or_b32 v4, v4, s0, v55
	v_lshlrev_b32_e32 v4, 4, v4
	s_movk_i32 s0, 0xf0
	s_waitcnt lgkmcnt(0)
	; wave barrier
	s_waitcnt lgkmcnt(0)
	buffer_store_dword v4, off, s[28:31], 0 offset:360 ; 4-byte Folded Spill
	s_movk_i32 s1, 0x2f0
	s_waitcnt vmcnt(1)
	v_mul_f64 v[53:54], v[15:16], v[198:199]
	v_mul_f64 v[65:66], v[13:14], v[198:199]
	;; [unrolled: 1-line block ×8, first 2 shown]
	v_fma_f64 v[13:14], v[13:14], v[196:197], -v[53:54]
	v_fma_f64 v[15:16], v[15:16], v[196:197], v[65:66]
	v_mul_f64 v[53:54], v[31:32], v[198:199]
	v_mul_f64 v[65:66], v[29:30], v[198:199]
	v_fma_f64 v[25:26], v[25:26], v[196:197], -v[94:95]
	v_fma_f64 v[27:28], v[27:28], v[196:197], v[96:97]
	v_mul_f64 v[94:95], v[43:44], v[198:199]
	v_mul_f64 v[96:97], v[41:42], v[198:199]
	v_fma_f64 v[45:46], v[45:46], v[196:197], -v[98:99]
	v_fma_f64 v[47:48], v[47:48], v[196:197], v[100:101]
	v_fma_f64 v[29:30], v[29:30], v[196:197], -v[53:54]
	v_fma_f64 v[31:32], v[31:32], v[196:197], v[65:66]
	v_fma_f64 v[53:54], v[61:62], v[196:197], -v[102:103]
	v_mul_f64 v[61:62], v[72:73], v[198:199]
	v_mul_f64 v[65:66], v[70:71], v[198:199]
	v_fma_f64 v[41:42], v[41:42], v[196:197], -v[94:95]
	v_fma_f64 v[43:44], v[43:44], v[196:197], v[96:97]
	v_mul_f64 v[94:95], v[88:89], v[198:199]
	v_mul_f64 v[96:97], v[86:87], v[198:199]
	;; [unrolled: 1-line block ×4, first 2 shown]
	v_add_f64 v[13:14], v[17:18], -v[13:14]
	v_add_f64 v[15:16], v[19:20], -v[15:16]
	v_fma_f64 v[63:64], v[63:64], v[196:197], v[104:105]
	v_add_f64 v[25:26], v[21:22], -v[25:26]
	v_add_f64 v[27:28], v[23:24], -v[27:28]
	v_fma_f64 v[70:71], v[70:71], v[196:197], -v[61:62]
	v_fma_f64 v[65:66], v[72:73], v[196:197], v[65:66]
	v_add_f64 v[29:30], v[33:34], -v[29:30]
	v_add_f64 v[31:32], v[35:36], -v[31:32]
	v_fma_f64 v[86:87], v[86:87], v[196:197], -v[94:95]
	;; [unrolled: 4-line block ×3, first 2 shown]
	v_fma_f64 v[92:93], v[92:93], v[196:197], v[100:101]
	v_fma_f64 v[17:18], v[17:18], 2.0, -v[13:14]
	v_fma_f64 v[19:20], v[19:20], 2.0, -v[15:16]
	v_add_f64 v[45:46], v[49:50], -v[45:46]
	v_add_f64 v[47:48], v[51:52], -v[47:48]
	v_fma_f64 v[21:22], v[21:22], 2.0, -v[25:26]
	v_fma_f64 v[23:24], v[23:24], 2.0, -v[27:28]
	v_add_f64 v[61:62], v[57:58], -v[53:54]
	v_add_f64 v[63:64], v[59:60], -v[63:64]
	;; [unrolled: 4-line block ×5, first 2 shown]
	ds_write_b128 v4, v[17:20]
	ds_write_b128 v4, v[13:16] offset:128
	v_and_or_b32 v4, v12, s0, v55
	v_lshlrev_b32_e32 v4, 4, v4
	s_movk_i32 s0, 0x1f0
	v_fma_f64 v[57:58], v[57:58], 2.0, -v[61:62]
	v_fma_f64 v[59:60], v[59:60], 2.0, -v[63:64]
	ds_write_b128 v4, v[21:24]
	buffer_store_dword v4, off, s[28:31], 0 offset:364 ; 4-byte Folded Spill
	ds_write_b128 v4, v[25:28] offset:128
	v_and_or_b32 v4, v11, s0, v55
	v_lshlrev_b32_e32 v4, 4, v4
	v_fma_f64 v[78:79], v[78:79], 2.0, -v[70:71]
	v_fma_f64 v[80:81], v[80:81], 2.0, -v[72:73]
	ds_write_b128 v4, v[33:36]
	buffer_store_dword v4, off, s[28:31], 0 offset:368 ; 4-byte Folded Spill
	ds_write_b128 v4, v[29:32] offset:128
	v_and_or_b32 v4, v10, s0, v55
	v_lshlrev_b32_e32 v4, 4, v4
	s_movk_i32 s0, 0x3f0
	v_fma_f64 v[82:83], v[82:83], 2.0, -v[86:87]
	v_fma_f64 v[84:85], v[84:85], 2.0, -v[88:89]
	ds_write_b128 v4, v[37:40]
	buffer_store_dword v4, off, s[28:31], 0 offset:372 ; 4-byte Folded Spill
	ds_write_b128 v4, v[41:44] offset:128
	v_and_or_b32 v4, v9, s0, v55
	v_lshlrev_b32_e32 v4, 4, v4
	v_fma_f64 v[74:75], v[74:75], 2.0, -v[90:91]
	v_fma_f64 v[76:77], v[76:77], 2.0, -v[92:93]
	ds_write_b128 v4, v[49:52]
	buffer_store_dword v4, off, s[28:31], 0 offset:376 ; 4-byte Folded Spill
	ds_write_b128 v4, v[45:48] offset:128
	v_and_or_b32 v4, v8, s1, v55
	v_lshlrev_b32_e32 v4, 4, v4
	ds_write_b128 v4, v[57:60]
	buffer_store_dword v4, off, s[28:31], 0 offset:380 ; 4-byte Folded Spill
	ds_write_b128 v4, v[61:64] offset:128
	v_and_or_b32 v4, v5, s0, v55
	v_lshlrev_b32_e32 v4, 4, v4
	;; [unrolled: 5-line block ×4, first 2 shown]
	v_and_b32_e32 v8, 15, v69
	ds_write_b128 v4, v[74:77]
	buffer_store_dword v4, off, s[28:31], 0 offset:392 ; 4-byte Folded Spill
	ds_write_b128 v4, v[90:93] offset:128
	v_lshlrev_b32_e32 v4, 5, v8
	s_waitcnt lgkmcnt(0)
	; wave barrier
	s_waitcnt lgkmcnt(0)
	global_load_dwordx4 v[152:155], v4, s[14:15] offset:224
	global_load_dwordx4 v[144:147], v4, s[14:15] offset:240
	v_and_b32_e32 v9, 15, v0
	v_lshlrev_b32_e32 v4, 5, v9
	global_load_dwordx4 v[156:159], v4, s[14:15] offset:224
	global_load_dwordx4 v[176:179], v4, s[14:15] offset:240
	v_lshlrev_b32_e32 v5, 5, v67
	v_and_b32_e32 v102, 15, v2
	global_load_dwordx2 v[88:89], v5, s[14:15] offset:224
	global_load_dwordx4 v[188:191], v4, s[14:15] offset:232
	v_lshlrev_b32_e32 v5, 5, v102
	global_load_dwordx4 v[204:207], v5, s[14:15] offset:224
	global_load_dwordx4 v[200:203], v5, s[14:15] offset:240
	global_load_dwordx2 v[96:97], v4, s[14:15] offset:248
	ds_read_b128 v[10:13], v68
	ds_read_b128 v[14:17], v68 offset:896
	ds_read_b128 v[18:21], v68 offset:5376
	;; [unrolled: 1-line block ×15, first 2 shown]
	s_mov_b32 s0, 0xe8584caa
	s_mov_b32 s1, 0x3febb67a
	;; [unrolled: 1-line block ×3, first 2 shown]
	s_waitcnt vmcnt(8) lgkmcnt(13)
	v_mul_f64 v[4:5], v[20:21], v[154:155]
	v_mul_f64 v[6:7], v[18:19], v[154:155]
	s_waitcnt vmcnt(7) lgkmcnt(11)
	v_mul_f64 v[54:55], v[28:29], v[146:147]
	s_waitcnt lgkmcnt(7)
	v_mul_f64 v[84:85], v[44:45], v[154:155]
	s_waitcnt vmcnt(5)
	v_mul_f64 v[82:83], v[30:31], v[178:179]
	v_mul_f64 v[65:66], v[22:23], v[158:159]
	v_fma_f64 v[4:5], v[18:19], v[152:153], -v[4:5]
	v_mul_f64 v[18:19], v[26:27], v[146:147]
	v_fma_f64 v[6:7], v[20:21], v[152:153], v[6:7]
	v_mul_f64 v[20:21], v[24:25], v[158:159]
	v_fma_f64 v[26:27], v[26:27], v[144:145], -v[54:55]
	v_mul_f64 v[54:55], v[32:33], v[178:179]
	s_waitcnt vmcnt(3)
	v_fma_f64 v[32:33], v[32:33], v[190:191], v[82:83]
	v_fma_f64 v[28:29], v[28:29], v[144:145], v[18:19]
	v_mul_f64 v[18:19], v[42:43], v[154:155]
	v_fma_f64 v[86:87], v[22:23], v[88:89], -v[20:21]
	buffer_store_dword v88, off, s[28:31], 0 offset:396 ; 4-byte Folded Spill
	s_nop 0
	buffer_store_dword v89, off, s[28:31], 0 offset:400 ; 4-byte Folded Spill
	s_waitcnt lgkmcnt(5)
	v_mul_f64 v[20:21], v[52:53], v[146:147]
	v_fma_f64 v[30:31], v[30:31], v[190:191], -v[54:55]
	v_fma_f64 v[54:55], v[42:43], v[152:153], -v[84:85]
	s_waitcnt vmcnt(3) lgkmcnt(4)
	v_mul_f64 v[42:43], v[57:58], v[202:203]
	v_mul_f64 v[22:23], v[50:51], v[146:147]
	v_fma_f64 v[44:45], v[44:45], v[152:153], v[18:19]
	v_mul_f64 v[18:19], v[48:49], v[206:207]
	v_fma_f64 v[82:83], v[50:51], v[144:145], -v[20:21]
	v_mul_f64 v[20:21], v[59:60], v[202:203]
	s_waitcnt lgkmcnt(3)
	v_mul_f64 v[50:51], v[63:64], v[154:155]
	v_fma_f64 v[59:60], v[59:60], v[200:201], v[42:43]
	s_waitcnt vmcnt(2) lgkmcnt(0)
	v_mul_f64 v[42:43], v[80:81], v[96:97]
	buffer_store_dword v96, off, s[28:31], 0 offset:352 ; 4-byte Folded Spill
	s_nop 0
	buffer_store_dword v97, off, s[28:31], 0 offset:356 ; 4-byte Folded Spill
	v_fma_f64 v[52:53], v[52:53], v[144:145], v[22:23]
	v_mul_f64 v[22:23], v[61:62], v[154:155]
	v_fma_f64 v[84:85], v[46:47], v[204:205], -v[18:19]
	v_fma_f64 v[57:58], v[57:58], v[200:201], -v[20:21]
	v_mul_f64 v[20:21], v[74:75], v[146:147]
	v_mul_f64 v[18:19], v[76:77], v[146:147]
	v_fma_f64 v[90:91], v[61:62], v[152:153], -v[50:51]
	v_add_f64 v[50:51], v[54:55], v[82:83]
	v_fma_f64 v[92:93], v[63:64], v[152:153], v[22:23]
	v_mul_f64 v[22:23], v[72:73], v[188:189]
	v_add_f64 v[63:64], v[44:45], -v[52:53]
	v_fma_f64 v[94:95], v[74:75], v[144:145], -v[18:19]
	v_mul_f64 v[18:19], v[70:71], v[188:189]
	v_fma_f64 v[61:62], v[50:51], -0.5, v[34:35]
	v_add_f64 v[74:75], v[84:85], -v[57:58]
	v_fma_f64 v[98:99], v[70:71], v[156:157], -v[22:23]
	v_fma_f64 v[100:101], v[72:73], v[156:157], v[18:19]
	v_fma_f64 v[65:66], v[24:25], v[88:89], v[65:66]
	v_mul_f64 v[24:25], v[46:47], v[206:207]
	v_fma_f64 v[88:89], v[48:49], v[204:205], v[24:25]
	v_add_f64 v[24:25], v[4:5], v[26:27]
	v_add_f64 v[48:49], v[86:87], -v[30:31]
	v_mul_f64 v[46:47], v[78:79], v[96:97]
	v_fma_f64 v[96:97], v[76:77], v[144:145], v[20:21]
	v_add_f64 v[20:21], v[10:11], v[4:5]
	v_fma_f64 v[78:79], v[78:79], v[176:177], -v[42:43]
	v_add_f64 v[42:43], v[6:7], v[28:29]
	v_fma_f64 v[22:23], v[24:25], -0.5, v[10:11]
	v_add_f64 v[24:25], v[6:7], -v[28:29]
	v_add_f64 v[6:7], v[12:13], v[6:7]
	v_add_f64 v[4:5], v[4:5], -v[26:27]
	v_fma_f64 v[80:81], v[80:81], v[176:177], v[46:47]
	v_add_f64 v[10:11], v[20:21], v[26:27]
	v_add_f64 v[20:21], v[86:87], v[30:31]
	v_fma_f64 v[42:43], v[42:43], -0.5, v[12:13]
	v_add_f64 v[26:27], v[65:66], v[32:33]
	v_fma_f64 v[18:19], v[24:25], s[0:1], v[22:23]
	v_fma_f64 v[22:23], v[24:25], s[2:3], v[22:23]
	v_add_f64 v[12:13], v[6:7], v[28:29]
	v_add_f64 v[6:7], v[14:15], v[86:87]
	v_add_f64 v[46:47], v[65:66], -v[32:33]
	v_fma_f64 v[28:29], v[20:21], -0.5, v[14:15]
	v_fma_f64 v[20:21], v[4:5], s[2:3], v[42:43]
	v_fma_f64 v[24:25], v[4:5], s[0:1], v[42:43]
	v_add_f64 v[4:5], v[16:17], v[65:66]
	v_fma_f64 v[42:43], v[26:27], -0.5, v[16:17]
	v_add_f64 v[65:66], v[38:39], v[84:85]
	v_add_f64 v[14:15], v[6:7], v[30:31]
	;; [unrolled: 1-line block ×3, first 2 shown]
	v_fma_f64 v[26:27], v[46:47], s[0:1], v[28:29]
	v_fma_f64 v[30:31], v[46:47], s[2:3], v[28:29]
	v_add_f64 v[34:35], v[84:85], v[57:58]
	v_add_f64 v[16:17], v[4:5], v[32:33]
	;; [unrolled: 1-line block ×3, first 2 shown]
	v_fma_f64 v[28:29], v[48:49], s[2:3], v[42:43]
	v_fma_f64 v[32:33], v[48:49], s[0:1], v[42:43]
	v_add_f64 v[42:43], v[6:7], v[82:83]
	v_add_f64 v[6:7], v[44:45], v[52:53]
	v_add_f64 v[54:55], v[54:55], -v[82:83]
	v_fma_f64 v[70:71], v[34:35], -0.5, v[38:39]
	v_add_f64 v[72:73], v[40:41], v[88:89]
	v_add_f64 v[44:45], v[4:5], v[52:53]
	;; [unrolled: 1-line block ×3, first 2 shown]
	v_fma_f64 v[34:35], v[63:64], s[0:1], v[61:62]
	v_fma_f64 v[38:39], v[63:64], s[2:3], v[61:62]
	v_fma_f64 v[6:7], v[6:7], -0.5, v[36:37]
	v_add_f64 v[63:64], v[88:89], -v[59:60]
	ds_read_b128 v[46:49], v68 offset:3584
	ds_read_b128 v[50:53], v68 offset:4480
	v_add_f64 v[59:60], v[72:73], v[59:60]
	v_add_f64 v[57:58], v[65:66], v[57:58]
	v_fma_f64 v[4:5], v[4:5], -0.5, v[40:41]
	v_add_f64 v[65:66], v[92:93], v[96:97]
	v_add_f64 v[82:83], v[100:101], v[80:81]
	v_fma_f64 v[36:37], v[54:55], s[2:3], v[6:7]
	v_fma_f64 v[40:41], v[54:55], s[0:1], v[6:7]
	s_waitcnt lgkmcnt(1)
	v_add_f64 v[6:7], v[46:47], v[90:91]
	v_add_f64 v[54:55], v[48:49], v[92:93]
	v_fma_f64 v[61:62], v[63:64], s[0:1], v[70:71]
	v_fma_f64 v[70:71], v[63:64], s[2:3], v[70:71]
	;; [unrolled: 1-line block ×4, first 2 shown]
	v_add_f64 v[4:5], v[90:91], v[94:95]
	s_waitcnt lgkmcnt(0)
	v_add_f64 v[86:87], v[50:51], v[98:99]
	v_add_f64 v[74:75], v[6:7], v[94:95]
	;; [unrolled: 1-line block ×4, first 2 shown]
	v_add_f64 v[54:55], v[92:93], -v[96:97]
	v_fma_f64 v[65:66], v[65:66], -0.5, v[48:49]
	v_add_f64 v[84:85], v[90:91], -v[94:95]
	v_fma_f64 v[4:5], v[4:5], -0.5, v[46:47]
	s_waitcnt lgkmcnt(0)
	; wave barrier
	v_add_f64 v[88:89], v[100:101], -v[80:81]
	v_fma_f64 v[6:7], v[6:7], -0.5, v[50:51]
	v_add_f64 v[90:91], v[52:53], v[100:101]
	v_fma_f64 v[92:93], v[82:83], -0.5, v[52:53]
	v_add_f64 v[94:95], v[98:99], -v[78:79]
	v_fma_f64 v[46:47], v[54:55], s[0:1], v[4:5]
	v_fma_f64 v[50:51], v[54:55], s[2:3], v[4:5]
	v_lshrrev_b32_e32 v4, 4, v69
	v_mul_u32_u24_e32 v4, 48, v4
	v_or_b32_e32 v4, v4, v8
	v_lshlrev_b32_e32 v4, 4, v4
	ds_write_b128 v4, v[10:13]
	ds_write_b128 v4, v[18:21] offset:256
	buffer_store_dword v4, off, s[28:31], 0 offset:328 ; 4-byte Folded Spill
	ds_write_b128 v4, v[22:25] offset:512
	v_lshrrev_b32_e32 v4, 4, v3
	v_mul_u32_u24_e32 v4, 48, v4
	v_or_b32_e32 v4, v4, v67
	v_lshlrev_b32_e32 v4, 4, v4
	ds_write_b128 v4, v[14:17]
	ds_write_b128 v4, v[26:29] offset:256
	buffer_store_dword v4, off, s[28:31], 0 offset:332 ; 4-byte Folded Spill
	ds_write_b128 v4, v[30:33] offset:512
	v_lshrrev_b32_e32 v4, 4, v56
	v_mul_u32_u24_e32 v4, 48, v4
	v_or_b32_e32 v4, v4, v8
	v_lshlrev_b32_e32 v4, 4, v4
	v_fma_f64 v[52:53], v[84:85], s[0:1], v[65:66]
	ds_write_b128 v4, v[42:45]
	ds_write_b128 v4, v[34:37] offset:256
	buffer_store_dword v4, off, s[28:31], 0 offset:336 ; 4-byte Folded Spill
	ds_write_b128 v4, v[38:41] offset:512
	v_lshrrev_b32_e32 v4, 4, v2
	v_fma_f64 v[48:49], v[84:85], s[2:3], v[65:66]
	v_mul_u32_u24_e32 v4, 48, v4
	v_or_b32_e32 v4, v4, v102
	v_lshlrev_b32_e32 v4, 4, v4
	v_add_f64 v[78:79], v[86:87], v[78:79]
	v_fma_f64 v[82:83], v[88:89], s[0:1], v[6:7]
	v_fma_f64 v[86:87], v[88:89], s[2:3], v[6:7]
	v_add_f64 v[80:81], v[90:91], v[80:81]
	v_fma_f64 v[88:89], v[94:95], s[0:1], v[92:93]
	ds_write_b128 v4, v[57:60]
	ds_write_b128 v4, v[61:64] offset:256
	buffer_store_dword v4, off, s[28:31], 0 offset:340 ; 4-byte Folded Spill
	ds_write_b128 v4, v[70:73] offset:512
	v_lshrrev_b32_e32 v4, 4, v1
	v_fma_f64 v[84:85], v[94:95], s[2:3], v[92:93]
	v_mul_u32_u24_e32 v4, 48, v4
	v_or_b32_e32 v4, v4, v8
	v_lshlrev_b32_e32 v4, 4, v4
	ds_write_b128 v4, v[74:77]
	ds_write_b128 v4, v[46:49] offset:256
	buffer_store_dword v4, off, s[28:31], 0 offset:344 ; 4-byte Folded Spill
	ds_write_b128 v4, v[50:53] offset:512
	v_lshrrev_b32_e32 v4, 4, v0
	v_mul_u32_u24_e32 v4, 48, v4
	v_or_b32_e32 v4, v4, v9
	v_lshlrev_b32_e32 v4, 4, v4
	ds_write_b128 v4, v[78:81]
	ds_write_b128 v4, v[82:85] offset:256
	buffer_store_dword v4, off, s[28:31], 0 offset:348 ; 4-byte Folded Spill
	ds_write_b128 v4, v[86:89] offset:512
	v_add_co_u32_e32 v4, vcc, s6, v69
	v_addc_co_u32_e64 v5, s[6:7], 0, -1, vcc
	v_cmp_gt_u16_e32 vcc, 48, v69
	v_cndmask_b32_e64 v5, v5, 0, vcc
	v_cndmask_b32_e32 v4, v4, v69, vcc
	v_lshlrev_b64 v[5:6], 5, v[4:5]
	v_mov_b32_e32 v59, s15
	v_add_co_u32_e32 v5, vcc, s14, v5
	v_addc_co_u32_e32 v6, vcc, v59, v6, vcc
	s_waitcnt lgkmcnt(0)
	; wave barrier
	s_waitcnt lgkmcnt(0)
	global_load_dwordx4 v[164:167], v[5:6], off offset:736
	global_load_dwordx4 v[148:151], v[5:6], off offset:752
	s_movk_i32 s6, 0xab
	v_mul_lo_u16_sdwa v5, v3, s6 dst_sel:DWORD dst_unused:UNUSED_PAD src0_sel:BYTE_0 src1_sel:DWORD
	v_lshrrev_b16_e32 v67, 13, v5
	v_mul_lo_u16_e32 v5, 48, v67
	v_sub_u16_e32 v3, v3, v5
	v_and_b32_e32 v70, 0xff, v3
	v_lshlrev_b32_e32 v3, 5, v70
	global_load_dwordx4 v[168:171], v3, s[14:15] offset:736
	global_load_dwordx4 v[160:163], v3, s[14:15] offset:752
	v_mul_lo_u16_sdwa v3, v56, s6 dst_sel:DWORD dst_unused:UNUSED_PAD src0_sel:BYTE_0 src1_sel:DWORD
	v_lshrrev_b16_e32 v71, 13, v3
	v_mul_lo_u16_e32 v3, 48, v71
	v_sub_u16_e32 v3, v56, v3
	v_and_b32_e32 v84, 0xff, v3
	v_lshlrev_b32_e32 v3, 5, v84
	global_load_dwordx4 v[184:187], v3, s[14:15] offset:736
	global_load_dwordx4 v[172:175], v3, s[14:15] offset:752
	;; [unrolled: 8-line block ×3, first 2 shown]
	ds_read_b128 v[8:11], v68 offset:5376
	ds_read_b128 v[12:15], v68 offset:6272
	;; [unrolled: 1-line block ×6, first 2 shown]
	s_mov_b32 s6, 0xaaab
	s_waitcnt vmcnt(7) lgkmcnt(5)
	v_mul_f64 v[2:3], v[10:11], v[166:167]
	v_mul_f64 v[5:6], v[8:9], v[166:167]
	s_waitcnt vmcnt(6) lgkmcnt(3)
	v_mul_f64 v[32:33], v[18:19], v[150:151]
	v_mul_f64 v[34:35], v[16:17], v[150:151]
	v_fma_f64 v[36:37], v[8:9], v[164:165], -v[2:3]
	s_waitcnt vmcnt(5)
	v_mul_f64 v[2:3], v[14:15], v[170:171]
	s_waitcnt vmcnt(4) lgkmcnt(2)
	v_mul_f64 v[42:43], v[20:21], v[162:163]
	v_mul_f64 v[40:41], v[22:23], v[162:163]
	;; [unrolled: 1-line block ×3, first 2 shown]
	v_fma_f64 v[5:6], v[10:11], v[164:165], v[5:6]
	v_fma_f64 v[32:33], v[16:17], v[148:149], -v[32:33]
	v_fma_f64 v[34:35], v[18:19], v[148:149], v[34:35]
	ds_read_b128 v[8:11], v68 offset:12544
	ds_read_b128 v[16:19], v68 offset:13440
	v_fma_f64 v[44:45], v[12:13], v[168:169], -v[2:3]
	s_waitcnt vmcnt(3) lgkmcnt(3)
	v_mul_f64 v[2:3], v[26:27], v[186:187]
	v_fma_f64 v[22:23], v[22:23], v[160:161], v[42:43]
	v_fma_f64 v[38:39], v[14:15], v[168:169], v[38:39]
	v_fma_f64 v[20:21], v[20:21], v[160:161], -v[40:41]
	v_mul_f64 v[12:13], v[24:25], v[186:187]
	s_waitcnt vmcnt(2) lgkmcnt(1)
	v_mul_f64 v[14:15], v[10:11], v[174:175]
	v_mul_f64 v[40:41], v[8:9], v[174:175]
	v_fma_f64 v[42:43], v[24:25], v[184:185], -v[2:3]
	s_waitcnt vmcnt(1)
	v_mul_f64 v[2:3], v[30:31], v[194:195]
	v_add_f64 v[24:25], v[36:37], -v[32:33]
	v_fma_f64 v[46:47], v[26:27], v[184:185], v[12:13]
	v_fma_f64 v[48:49], v[8:9], v[172:173], -v[14:15]
	v_fma_f64 v[40:41], v[10:11], v[172:173], v[40:41]
	v_mul_f64 v[7:8], v[28:29], v[194:195]
	s_waitcnt vmcnt(0) lgkmcnt(0)
	v_mul_f64 v[9:10], v[18:19], v[182:183]
	v_fma_f64 v[50:51], v[28:29], v[192:193], -v[2:3]
	v_mul_u32_u24_sdwa v2, v1, s6 dst_sel:DWORD dst_unused:UNUSED_PAD src0_sel:WORD_0 src1_sel:DWORD
	v_lshrrev_b32_e32 v87, 21, v2
	v_mul_lo_u16_e32 v2, 48, v87
	v_sub_u16_e32 v88, v1, v2
	v_lshlrev_b16_e32 v1, 5, v88
	v_add_co_u32_e32 v1, vcc, s14, v1
	v_addc_co_u32_e32 v2, vcc, 0, v59, vcc
	global_load_dwordx4 v[208:211], v[1:2], off offset:736
	v_mul_f64 v[11:12], v[16:17], v[182:183]
	v_fma_f64 v[52:53], v[30:31], v[192:193], v[7:8]
	v_fma_f64 v[54:55], v[16:17], v[180:181], -v[9:10]
	v_add_f64 v[28:29], v[44:45], -v[20:21]
	v_fma_f64 v[57:58], v[18:19], v[180:181], v[11:12]
	ds_read_b128 v[8:11], v68 offset:8960
	ds_read_b128 v[12:15], v68 offset:9856
	global_load_dwordx4 v[212:215], v[1:2], off offset:752
	s_waitcnt vmcnt(1) lgkmcnt(1)
	v_mul_f64 v[16:17], v[10:11], v[210:211]
	v_fma_f64 v[61:62], v[8:9], v[208:209], -v[16:17]
	v_mul_f64 v[7:8], v[8:9], v[210:211]
	v_fma_f64 v[63:64], v[10:11], v[208:209], v[7:8]
	ds_read_b128 v[8:11], v68 offset:14336
	ds_read_b128 v[16:19], v68 offset:15232
	s_waitcnt vmcnt(0) lgkmcnt(1)
	v_mul_f64 v[1:2], v[10:11], v[214:215]
	v_fma_f64 v[65:66], v[8:9], v[212:213], -v[1:2]
	v_mul_f64 v[1:2], v[8:9], v[214:215]
	v_fma_f64 v[72:73], v[10:11], v[212:213], v[1:2]
	v_mul_u32_u24_sdwa v1, v0, s6 dst_sel:DWORD dst_unused:UNUSED_PAD src0_sel:WORD_0 src1_sel:DWORD
	v_lshrrev_b32_e32 v89, 21, v1
	v_mul_lo_u16_e32 v1, 48, v89
	v_sub_u16_e32 v90, v0, v1
	v_lshlrev_b16_e32 v0, 5, v90
	v_add_co_u32_e32 v0, vcc, s14, v0
	v_addc_co_u32_e32 v1, vcc, 0, v59, vcc
	global_load_dwordx4 v[216:219], v[0:1], off offset:736
	global_load_dwordx4 v[224:227], v[0:1], off offset:752
	v_add_f64 v[82:83], v[63:64], v[72:73]
	v_cmp_lt_u16_e32 vcc, 47, v69
	s_waitcnt vmcnt(1)
	v_mul_f64 v[2:3], v[14:15], v[218:219]
	s_waitcnt vmcnt(0) lgkmcnt(0)
	v_mul_f64 v[0:1], v[18:19], v[226:227]
	v_fma_f64 v[74:75], v[12:13], v[216:217], -v[2:3]
	v_mul_f64 v[2:3], v[12:13], v[218:219]
	v_fma_f64 v[78:79], v[16:17], v[224:225], -v[0:1]
	v_mul_f64 v[0:1], v[16:17], v[226:227]
	v_add_f64 v[12:13], v[36:37], v[32:33]
	v_fma_f64 v[76:77], v[14:15], v[216:217], v[2:3]
	v_fma_f64 v[80:81], v[18:19], v[224:225], v[0:1]
	ds_read_b128 v[0:3], v68
	ds_read_b128 v[8:11], v68 offset:896
	s_waitcnt lgkmcnt(1)
	v_fma_f64 v[14:15], v[12:13], -0.5, v[0:1]
	v_add_f64 v[12:13], v[5:6], v[34:35]
	v_add_f64 v[0:1], v[0:1], v[36:37]
	;; [unrolled: 1-line block ×3, first 2 shown]
	v_fma_f64 v[18:19], v[12:13], -0.5, v[2:3]
	v_add_f64 v[2:3], v[2:3], v[5:6]
	v_add_f64 v[5:6], v[5:6], -v[34:35]
	v_add_f64 v[0:1], v[0:1], v[32:33]
	v_add_f64 v[2:3], v[2:3], v[34:35]
	v_fma_f64 v[12:13], v[5:6], s[0:1], v[14:15]
	v_fma_f64 v[16:17], v[5:6], s[2:3], v[14:15]
	;; [unrolled: 1-line block ×4, first 2 shown]
	v_add_f64 v[5:6], v[44:45], v[20:21]
	v_add_f64 v[24:25], v[38:39], v[22:23]
	s_waitcnt lgkmcnt(0)
	v_fma_f64 v[5:6], v[5:6], -0.5, v[8:9]
	v_fma_f64 v[26:27], v[24:25], -0.5, v[10:11]
	v_add_f64 v[7:8], v[8:9], v[44:45]
	v_add_f64 v[24:25], v[38:39], -v[22:23]
	v_add_f64 v[10:11], v[10:11], v[38:39]
	v_add_f64 v[38:39], v[46:47], -v[40:41]
	v_add_f64 v[8:9], v[7:8], v[20:21]
	v_fma_f64 v[20:21], v[24:25], s[0:1], v[5:6]
	v_fma_f64 v[24:25], v[24:25], s[2:3], v[5:6]
	v_add_f64 v[5:6], v[42:43], v[48:49]
	v_add_f64 v[10:11], v[10:11], v[22:23]
	v_fma_f64 v[22:23], v[28:29], s[2:3], v[26:27]
	v_fma_f64 v[26:27], v[28:29], s[0:1], v[26:27]
	ds_read_b128 v[28:31], v68 offset:1792
	ds_read_b128 v[32:35], v68 offset:2688
	s_waitcnt lgkmcnt(1)
	v_fma_f64 v[5:6], v[5:6], -0.5, v[28:29]
	v_fma_f64 v[44:45], v[36:37], -0.5, v[30:31]
	v_add_f64 v[30:31], v[30:31], v[46:47]
	v_add_f64 v[28:29], v[28:29], v[42:43]
	v_add_f64 v[42:43], v[42:43], -v[48:49]
	v_add_f64 v[46:47], v[52:53], -v[57:58]
	v_fma_f64 v[36:37], v[38:39], s[0:1], v[5:6]
	v_add_f64 v[30:31], v[30:31], v[40:41]
	v_fma_f64 v[40:41], v[38:39], s[2:3], v[5:6]
	v_add_f64 v[5:6], v[50:51], v[54:55]
	v_fma_f64 v[38:39], v[42:43], s[2:3], v[44:45]
	v_fma_f64 v[42:43], v[42:43], s[0:1], v[44:45]
	v_add_f64 v[44:45], v[52:53], v[57:58]
	v_add_f64 v[28:29], v[28:29], v[48:49]
	s_waitcnt lgkmcnt(0)
	v_fma_f64 v[5:6], v[5:6], -0.5, v[32:33]
	v_add_f64 v[32:33], v[32:33], v[50:51]
	v_add_f64 v[50:51], v[50:51], -v[54:55]
	v_fma_f64 v[59:60], v[44:45], -0.5, v[34:35]
	v_add_f64 v[34:35], v[34:35], v[52:53]
	v_fma_f64 v[44:45], v[46:47], s[0:1], v[5:6]
	v_fma_f64 v[48:49], v[46:47], s[2:3], v[5:6]
	v_add_f64 v[5:6], v[61:62], v[65:66]
	v_add_f64 v[32:33], v[32:33], v[54:55]
	;; [unrolled: 1-line block ×3, first 2 shown]
	v_fma_f64 v[46:47], v[50:51], s[2:3], v[59:60]
	v_fma_f64 v[50:51], v[50:51], s[0:1], v[59:60]
	ds_read_b128 v[52:55], v68 offset:3584
	ds_read_b128 v[57:60], v68 offset:4480
	s_waitcnt lgkmcnt(0)
	; wave barrier
	s_waitcnt lgkmcnt(0)
	v_fma_f64 v[5:6], v[5:6], -0.5, v[52:53]
	v_fma_f64 v[82:83], v[82:83], -0.5, v[54:55]
	v_add_f64 v[54:55], v[54:55], v[63:64]
	v_add_f64 v[52:53], v[52:53], v[61:62]
	v_add_f64 v[63:64], v[63:64], -v[72:73]
	v_add_f64 v[54:55], v[54:55], v[72:73]
	v_add_f64 v[52:53], v[52:53], v[65:66]
	v_add_f64 v[65:66], v[61:62], -v[65:66]
	v_fma_f64 v[61:62], v[63:64], s[0:1], v[5:6]
	v_fma_f64 v[232:233], v[63:64], s[2:3], v[5:6]
	v_add_f64 v[5:6], v[74:75], v[78:79]
	v_add_f64 v[72:73], v[76:77], -v[80:81]
	v_fma_f64 v[63:64], v[65:66], s[2:3], v[82:83]
	v_fma_f64 v[234:235], v[65:66], s[0:1], v[82:83]
	v_add_f64 v[65:66], v[76:77], v[80:81]
	v_fma_f64 v[5:6], v[5:6], -0.5, v[57:58]
	v_add_f64 v[57:58], v[57:58], v[74:75]
	v_fma_f64 v[65:66], v[65:66], -0.5, v[59:60]
	v_add_f64 v[59:60], v[59:60], v[76:77]
	v_add_f64 v[96:97], v[57:58], v[78:79]
	v_add_f64 v[57:58], v[74:75], -v[78:79]
	v_fma_f64 v[140:141], v[72:73], s[0:1], v[5:6]
	v_fma_f64 v[252:253], v[72:73], s[2:3], v[5:6]
	v_mov_b32_e32 v5, 0x90
	v_cndmask_b32_e32 v5, 0, v5, vcc
	v_add_lshl_u32 v4, v4, v5, 4
	ds_write_b128 v4, v[0:3]
	ds_write_b128 v4, v[12:15] offset:768
	v_mul_u32_u24_e32 v0, 0x90, v67
	v_add_f64 v[98:99], v[59:60], v[80:81]
	v_fma_f64 v[254:255], v[57:58], s[0:1], v[65:66]
	v_add_lshl_u32 v0, v0, v70, 4
	v_fma_f64 v[142:143], v[57:58], s[2:3], v[65:66]
	buffer_store_dword v4, off, s[28:31], 0 offset:304 ; 4-byte Folded Spill
	ds_write_b128 v4, v[16:19] offset:1536
	ds_write_b128 v0, v[8:11]
	ds_write_b128 v0, v[20:23] offset:768
	buffer_store_dword v0, off, s[28:31], 0 offset:308 ; 4-byte Folded Spill
	ds_write_b128 v0, v[24:27] offset:1536
	v_mul_u32_u24_e32 v0, 0x90, v71
	v_add_lshl_u32 v0, v0, v84, 4
	ds_write_b128 v0, v[28:31]
	ds_write_b128 v0, v[36:39] offset:768
	buffer_store_dword v0, off, s[28:31], 0 offset:312 ; 4-byte Folded Spill
	ds_write_b128 v0, v[40:43] offset:1536
	v_mul_u32_u24_e32 v0, 0x90, v85
	s_movk_i32 s0, 0x90
	v_add_lshl_u32 v1, v0, v86, 4
	v_mad_legacy_u16 v0, v87, s0, v88
	v_lshlrev_b32_e32 v0, 4, v0
	ds_write_b128 v1, v[32:35]
	ds_write_b128 v1, v[44:47] offset:768
	buffer_store_dword v1, off, s[28:31], 0 offset:316 ; 4-byte Folded Spill
	ds_write_b128 v1, v[48:51] offset:1536
	ds_write_b128 v0, v[52:55]
	ds_write_b128 v0, v[61:64] offset:768
	buffer_store_dword v0, off, s[28:31], 0 offset:320 ; 4-byte Folded Spill
	ds_write_b128 v0, v[232:235] offset:1536
	v_mad_legacy_u16 v0, v89, s0, v90
	v_lshlrev_b32_e32 v0, 4, v0
	ds_write_b128 v0, v[96:99]
	ds_write_b128 v0, v[140:143] offset:768
	buffer_store_dword v0, off, s[28:31], 0 offset:324 ; 4-byte Folded Spill
	ds_write_b128 v0, v[252:255] offset:1536
	s_waitcnt lgkmcnt(0)
	; wave barrier
	s_waitcnt lgkmcnt(0)
	ds_read_b128 v[240:243], v68
	ds_read_b128 v[236:239], v68 offset:896
	ds_read_b128 v[136:139], v68 offset:2304
	;; [unrolled: 1-line block ×13, first 2 shown]
	s_load_dwordx2 s[2:3], s[4:5], 0x38
	v_cmp_gt_u16_e32 vcc, 32, v69
                                        ; implicit-def: $vgpr0_vgpr1
	s_and_saveexec_b64 s[0:1], vcc
	s_cbranch_execz .LBB0_3
; %bb.2:
	ds_read_b128 v[232:235], v68 offset:1792
	ds_read_b128 v[96:99], v68 offset:4096
	;; [unrolled: 1-line block ×7, first 2 shown]
.LBB0_3:
	s_or_b64 exec, exec, s[0:1]
	v_mov_b32_e32 v4, s14
	s_movk_i32 s0, 0x60
	v_mov_b32_e32 v5, s15
	v_mad_u64_u32 v[4:5], s[0:1], v69, s0, v[4:5]
	s_movk_i32 s0, 0x1500
	global_load_dwordx4 v[88:91], v[4:5], off offset:2320
	global_load_dwordx4 v[100:103], v[4:5], off offset:2304
	global_load_dwordx4 v[104:107], v[4:5], off offset:2288
	global_load_dwordx4 v[112:115], v[4:5], off offset:2272
	s_mov_b32 s4, 0x37e14327
	s_mov_b32 s6, 0x429ad128
	;; [unrolled: 1-line block ×16, first 2 shown]
	s_waitcnt vmcnt(0) lgkmcnt(0)
	v_mul_f64 v[6:7], v[138:139], v[114:115]
	v_fma_f64 v[32:33], v[136:137], v[112:113], -v[6:7]
	v_mul_f64 v[6:7], v[136:137], v[114:115]
	v_fma_f64 v[38:39], v[138:139], v[112:113], v[6:7]
	v_mul_f64 v[6:7], v[130:131], v[106:107]
	v_fma_f64 v[34:35], v[128:129], v[104:105], -v[6:7]
	v_mul_f64 v[6:7], v[128:129], v[106:107]
	v_fma_f64 v[40:41], v[130:131], v[104:105], v[6:7]
	;; [unrolled: 4-line block ×3, first 2 shown]
	global_load_dwordx4 v[124:127], v[4:5], off offset:2352
	global_load_dwordx4 v[128:131], v[4:5], off offset:2336
	v_mul_f64 v[6:7], v[122:123], v[90:91]
	v_add_co_u32_e64 v4, s[0:1], s0, v4
	v_addc_co_u32_e64 v5, s[0:1], 0, v5, s[0:1]
	v_fma_f64 v[44:45], v[120:121], v[88:89], -v[6:7]
	v_mul_f64 v[6:7], v[120:121], v[90:91]
	v_fma_f64 v[46:47], v[122:123], v[88:89], v[6:7]
	s_waitcnt vmcnt(0)
	v_mul_f64 v[6:7], v[118:119], v[130:131]
	v_fma_f64 v[48:49], v[116:117], v[128:129], -v[6:7]
	v_mul_f64 v[6:7], v[116:117], v[130:131]
	v_fma_f64 v[50:51], v[118:119], v[128:129], v[6:7]
	v_mul_f64 v[6:7], v[110:111], v[126:127]
	v_fma_f64 v[52:53], v[108:109], v[124:125], -v[6:7]
	v_mul_f64 v[6:7], v[108:109], v[126:127]
	v_fma_f64 v[54:55], v[110:111], v[124:125], v[6:7]
	global_load_dwordx4 v[108:111], v[4:5], off offset:2320
	global_load_dwordx4 v[116:119], v[4:5], off offset:2304
	;; [unrolled: 1-line block ×4, first 2 shown]
	s_waitcnt vmcnt(0)
	v_mul_f64 v[6:7], v[134:135], v[138:139]
	v_fma_f64 v[8:9], v[132:133], v[136:137], -v[6:7]
	v_mul_f64 v[6:7], v[132:133], v[138:139]
	v_fma_f64 v[14:15], v[134:135], v[136:137], v[6:7]
	v_mul_f64 v[6:7], v[94:95], v[122:123]
	v_fma_f64 v[10:11], v[92:93], v[120:121], -v[6:7]
	v_mul_f64 v[6:7], v[92:93], v[122:123]
	v_fma_f64 v[16:17], v[94:95], v[120:121], v[6:7]
	;; [unrolled: 4-line block ×4, first 2 shown]
	global_load_dwordx4 v[72:75], v[4:5], off offset:2352
	global_load_dwordx4 v[132:135], v[4:5], off offset:2336
	v_mov_b32_e32 v6, s15
	s_waitcnt vmcnt(0)
	v_mul_f64 v[4:5], v[82:83], v[134:135]
	v_fma_f64 v[24:25], v[80:81], v[132:133], -v[4:5]
	v_mul_f64 v[4:5], v[80:81], v[134:135]
	v_fma_f64 v[26:27], v[82:83], v[132:133], v[4:5]
	v_mul_f64 v[4:5], v[78:79], v[74:75]
	v_fma_f64 v[28:29], v[76:77], v[72:73], -v[4:5]
	v_mul_f64 v[4:5], v[76:77], v[74:75]
	v_fma_f64 v[30:31], v[78:79], v[72:73], v[4:5]
	v_subrev_u32_e32 v4, 32, v69
	v_cndmask_b32_e32 v4, v4, v56, vcc
	v_mul_hi_i32_i24_e32 v5, 0x60, v4
	v_mul_i32_i24_e32 v4, 0x60, v4
	v_add_co_u32_e64 v4, s[0:1], s14, v4
	v_addc_co_u32_e64 v5, s[0:1], v6, v5, s[0:1]
	global_load_dwordx4 v[76:79], v[4:5], off offset:2320
	global_load_dwordx4 v[80:83], v[4:5], off offset:2304
	;; [unrolled: 1-line block ×4, first 2 shown]
	s_mov_b32 s0, 0x36b3c0b5
	s_mov_b32 s14, 0xe976ee23
	;; [unrolled: 1-line block ×4, first 2 shown]
	s_waitcnt vmcnt(0)
	v_mul_f64 v[6:7], v[98:99], v[60:61]
	v_fma_f64 v[56:57], v[96:97], v[58:59], -v[6:7]
	v_mul_f64 v[6:7], v[96:97], v[60:61]
	buffer_store_dword v58, off, s[28:31], 0 offset:564 ; 4-byte Folded Spill
	s_nop 0
	buffer_store_dword v59, off, s[28:31], 0 offset:568 ; 4-byte Folded Spill
	buffer_store_dword v60, off, s[28:31], 0 offset:572 ; 4-byte Folded Spill
	buffer_store_dword v61, off, s[28:31], 0 offset:576 ; 4-byte Folded Spill
	v_fma_f64 v[62:63], v[98:99], v[58:59], v[6:7]
	v_mul_f64 v[6:7], v[142:143], v[66:67]
	v_fma_f64 v[58:59], v[140:141], v[64:65], -v[6:7]
	v_mul_f64 v[6:7], v[140:141], v[66:67]
	buffer_store_dword v64, off, s[28:31], 0 offset:548 ; 4-byte Folded Spill
	s_nop 0
	buffer_store_dword v65, off, s[28:31], 0 offset:552 ; 4-byte Folded Spill
	buffer_store_dword v66, off, s[28:31], 0 offset:556 ; 4-byte Folded Spill
	buffer_store_dword v67, off, s[28:31], 0 offset:560 ; 4-byte Folded Spill
	v_fma_f64 v[64:65], v[142:143], v[64:65], v[6:7]
	;; [unrolled: 9-line block ×3, first 2 shown]
	v_mul_f64 v[6:7], v[2:3], v[78:79]
	v_fma_f64 v[252:253], v[0:1], v[76:77], -v[6:7]
	v_mul_f64 v[0:1], v[0:1], v[78:79]
	buffer_store_dword v76, off, s[28:31], 0 offset:516 ; 4-byte Folded Spill
	s_nop 0
	buffer_store_dword v77, off, s[28:31], 0 offset:520 ; 4-byte Folded Spill
	buffer_store_dword v78, off, s[28:31], 0 offset:524 ; 4-byte Folded Spill
	;; [unrolled: 1-line block ×3, first 2 shown]
	global_load_dwordx4 v[96:99], v[4:5], off offset:2352
	global_load_dwordx4 v[140:143], v[4:5], off offset:2336
	v_add_f64 v[6:7], v[38:39], v[54:55]
	v_add_f64 v[38:39], v[38:39], -v[54:55]
	v_add_f64 v[54:55], v[40:41], v[50:51]
	v_add_f64 v[40:41], v[40:41], -v[50:51]
	;; [unrolled: 2-line block ×4, first 2 shown]
	v_add_f64 v[6:7], v[6:7], -v[50:51]
	v_add_f64 v[54:55], v[50:51], -v[54:55]
	v_add_f64 v[82:83], v[42:43], v[40:41]
	v_add_f64 v[86:87], v[42:43], -v[40:41]
	v_add_f64 v[40:41], v[40:41], -v[38:39]
	;; [unrolled: 1-line block ×3, first 2 shown]
	v_add_f64 v[46:47], v[50:51], v[46:47]
	v_mul_f64 v[6:7], v[6:7], s[4:5]
	v_add_f64 v[38:39], v[82:83], v[38:39]
	v_fma_f64 v[0:1], v[2:3], v[76:77], v[0:1]
	s_waitcnt vmcnt(0)
	v_mul_f64 v[4:5], v[244:245], v[142:143]
	v_mul_f64 v[2:3], v[246:247], v[142:143]
	v_fma_f64 v[254:255], v[246:247], v[140:141], v[4:5]
	v_mul_f64 v[4:5], v[250:251], v[98:99]
	v_fma_f64 v[2:3], v[244:245], v[140:141], -v[2:3]
	v_fma_f64 v[70:71], v[248:249], v[96:97], -v[4:5]
	v_mul_f64 v[4:5], v[248:249], v[98:99]
	v_fma_f64 v[92:93], v[250:251], v[96:97], v[4:5]
	v_add_f64 v[4:5], v[32:33], v[52:53]
	v_add_f64 v[32:33], v[32:33], -v[52:53]
	v_add_f64 v[52:53], v[34:35], v[48:49]
	v_add_f64 v[34:35], v[34:35], -v[48:49]
	;; [unrolled: 2-line block ×4, first 2 shown]
	v_add_f64 v[4:5], v[4:5], -v[48:49]
	v_add_f64 v[52:53], v[48:49], -v[52:53]
	v_add_f64 v[80:81], v[36:37], v[34:35]
	v_add_f64 v[84:85], v[36:37], -v[34:35]
	v_add_f64 v[94:95], v[34:35], -v[32:33]
	;; [unrolled: 1-line block ×3, first 2 shown]
	v_add_f64 v[44:45], v[48:49], v[44:45]
	v_add_f64 v[34:35], v[242:243], v[46:47]
	v_mul_f64 v[4:5], v[4:5], s[4:5]
	v_mul_f64 v[50:51], v[52:53], s[0:1]
	v_add_f64 v[48:49], v[80:81], v[32:33]
	v_mul_f64 v[80:81], v[54:55], s[0:1]
	v_mul_f64 v[82:83], v[84:85], s[14:15]
	;; [unrolled: 1-line block ×3, first 2 shown]
	v_add_f64 v[32:33], v[240:241], v[44:45]
	v_mul_f64 v[86:87], v[94:95], s[6:7]
	v_mul_f64 v[240:241], v[40:41], s[6:7]
	v_fma_f64 v[46:47], v[46:47], s[16:17], v[34:35]
	v_fma_f64 v[52:53], v[52:53], s[0:1], v[4:5]
	;; [unrolled: 1-line block ×3, first 2 shown]
	v_fma_f64 v[50:51], v[76:77], s[18:19], -v[50:51]
	v_fma_f64 v[80:81], v[78:79], s[18:19], -v[80:81]
	v_fma_f64 v[44:45], v[44:45], s[16:17], v[32:33]
	v_fma_f64 v[4:5], v[76:77], s[22:23], -v[4:5]
	v_fma_f64 v[6:7], v[78:79], s[22:23], -v[6:7]
	v_fma_f64 v[76:77], v[36:37], s[24:25], v[82:83]
	v_fma_f64 v[78:79], v[42:43], s[24:25], v[84:85]
	v_fma_f64 v[82:83], v[94:95], s[6:7], -v[82:83]
	v_fma_f64 v[40:41], v[40:41], s[6:7], -v[84:85]
	;; [unrolled: 1-line block ×4, first 2 shown]
	v_add_f64 v[84:85], v[52:53], v[44:45]
	v_add_f64 v[86:87], v[54:55], v[46:47]
	;; [unrolled: 1-line block ×6, first 2 shown]
	v_fma_f64 v[54:55], v[48:49], s[20:21], v[82:83]
	v_fma_f64 v[80:81], v[38:39], s[20:21], v[40:41]
	;; [unrolled: 1-line block ×6, first 2 shown]
	v_add_f64 v[46:47], v[54:55], v[52:53]
	v_add_f64 v[44:45], v[50:51], -v[80:81]
	v_add_f64 v[42:43], v[6:7], -v[82:83]
	v_add_f64 v[40:41], v[94:95], v[4:5]
	v_add_f64 v[48:49], v[80:81], v[50:51]
	v_add_f64 v[50:51], v[52:53], -v[54:55]
	v_add_f64 v[52:53], v[4:5], -v[94:95]
	v_add_f64 v[54:55], v[82:83], v[6:7]
	v_add_f64 v[4:5], v[8:9], v[28:29]
	;; [unrolled: 1-line block ×3, first 2 shown]
	v_add_f64 v[8:9], v[8:9], -v[28:29]
	v_add_f64 v[14:15], v[14:15], -v[30:31]
	v_add_f64 v[28:29], v[10:11], v[24:25]
	v_add_f64 v[30:31], v[16:17], v[26:27]
	v_add_f64 v[10:11], v[10:11], -v[24:25]
	v_add_f64 v[16:17], v[16:17], -v[26:27]
	v_add_f64 v[24:25], v[12:13], v[20:21]
	v_add_f64 v[26:27], v[18:19], v[22:23]
	;; [unrolled: 4-line block ×3, first 2 shown]
	v_add_f64 v[36:37], v[78:79], v[84:85]
	v_add_f64 v[38:39], v[86:87], -v[76:77]
	v_add_f64 v[244:245], v[84:85], -v[78:79]
	v_add_f64 v[246:247], v[76:77], v[86:87]
	v_add_f64 v[76:77], v[28:29], -v[4:5]
	v_add_f64 v[78:79], v[30:31], -v[6:7]
	;; [unrolled: 1-line block ×6, first 2 shown]
	v_add_f64 v[80:81], v[12:13], v[10:11]
	v_add_f64 v[82:83], v[18:19], v[16:17]
	v_add_f64 v[84:85], v[12:13], -v[10:11]
	v_add_f64 v[86:87], v[18:19], -v[16:17]
	;; [unrolled: 1-line block ×3, first 2 shown]
	v_add_f64 v[20:21], v[24:25], v[20:21]
	v_add_f64 v[22:23], v[26:27], v[22:23]
	v_add_f64 v[12:13], v[8:9], -v[12:13]
	v_add_f64 v[18:19], v[14:15], -v[18:19]
	;; [unrolled: 1-line block ×3, first 2 shown]
	v_add_f64 v[8:9], v[80:81], v[8:9]
	v_add_f64 v[14:15], v[82:83], v[14:15]
	v_mul_f64 v[4:5], v[4:5], s[4:5]
	v_add_f64 v[248:249], v[236:237], v[20:21]
	v_add_f64 v[250:251], v[238:239], v[22:23]
	v_mul_f64 v[6:7], v[6:7], s[4:5]
	v_mul_f64 v[24:25], v[28:29], s[0:1]
	;; [unrolled: 1-line block ×7, first 2 shown]
	v_fma_f64 v[20:21], v[20:21], s[16:17], v[248:249]
	v_fma_f64 v[22:23], v[22:23], s[16:17], v[250:251]
	;; [unrolled: 1-line block ×4, first 2 shown]
	v_fma_f64 v[24:25], v[76:77], s[18:19], -v[24:25]
	v_fma_f64 v[26:27], v[78:79], s[18:19], -v[26:27]
	;; [unrolled: 1-line block ×4, first 2 shown]
	v_fma_f64 v[76:77], v[12:13], s[24:25], v[80:81]
	v_fma_f64 v[10:11], v[10:11], s[6:7], -v[80:81]
	v_fma_f64 v[16:17], v[16:17], s[6:7], -v[82:83]
	;; [unrolled: 1-line block ×3, first 2 shown]
	v_fma_f64 v[78:79], v[18:19], s[24:25], v[82:83]
	v_fma_f64 v[18:19], v[18:19], s[26:27], -v[86:87]
	v_add_f64 v[30:31], v[30:31], v[22:23]
	v_add_f64 v[24:25], v[24:25], v[20:21]
	v_add_f64 v[26:27], v[26:27], v[22:23]
	v_add_f64 v[22:23], v[6:7], v[22:23]
	v_fma_f64 v[86:87], v[8:9], s[20:21], v[76:77]
	v_fma_f64 v[10:11], v[8:9], s[20:21], v[10:11]
	;; [unrolled: 1-line block ×4, first 2 shown]
	v_add_f64 v[28:29], v[28:29], v[20:21]
	v_add_f64 v[20:21], v[4:5], v[20:21]
	v_fma_f64 v[84:85], v[14:15], s[20:21], v[78:79]
	v_fma_f64 v[12:13], v[14:15], s[20:21], v[18:19]
	v_add_f64 v[18:19], v[64:65], v[254:255]
	v_add_f64 v[242:243], v[10:11], v[26:27]
	v_add_f64 v[240:241], v[24:25], -v[16:17]
	v_add_f64 v[238:239], v[22:23], -v[8:9]
	v_add_f64 v[76:77], v[16:17], v[24:25]
	v_add_f64 v[78:79], v[26:27], -v[10:11]
	v_add_f64 v[82:83], v[8:9], v[22:23]
	v_add_f64 v[8:9], v[56:57], v[70:71]
	;; [unrolled: 1-line block ×5, first 2 shown]
	v_add_f64 v[6:7], v[30:31], -v[86:87]
	v_add_f64 v[236:237], v[12:13], v[20:21]
	v_add_f64 v[80:81], v[20:21], -v[12:13]
	v_add_f64 v[84:85], v[28:29], -v[84:85]
	v_add_f64 v[86:87], v[86:87], v[30:31]
	v_add_f64 v[12:13], v[56:57], -v[70:71]
	v_add_f64 v[14:15], v[62:63], -v[92:93]
	;; [unrolled: 1-line block ×4, first 2 shown]
	v_add_f64 v[22:23], v[60:61], v[252:253]
	v_add_f64 v[24:25], v[66:67], v[0:1]
	v_add_f64 v[26:27], v[252:253], -v[60:61]
	v_add_f64 v[0:1], v[0:1], -v[66:67]
	v_add_f64 v[28:29], v[16:17], v[8:9]
	v_add_f64 v[30:31], v[18:19], v[10:11]
	v_add_f64 v[56:57], v[16:17], -v[8:9]
	v_add_f64 v[58:59], v[18:19], -v[10:11]
	;; [unrolled: 1-line block ×6, first 2 shown]
	v_add_f64 v[60:61], v[26:27], v[2:3]
	v_add_f64 v[62:63], v[0:1], v[20:21]
	v_add_f64 v[64:65], v[26:27], -v[2:3]
	v_add_f64 v[66:67], v[0:1], -v[20:21]
	;; [unrolled: 1-line block ×4, first 2 shown]
	v_add_f64 v[22:23], v[22:23], v[28:29]
	v_add_f64 v[24:25], v[24:25], v[30:31]
	v_add_f64 v[26:27], v[12:13], -v[26:27]
	v_add_f64 v[70:71], v[14:15], -v[0:1]
	v_add_f64 v[30:31], v[60:61], v[12:13]
	v_add_f64 v[60:61], v[62:63], v[14:15]
	v_mul_f64 v[8:9], v[8:9], s[4:5]
	v_mul_f64 v[10:11], v[10:11], s[4:5]
	v_add_f64 v[0:1], v[232:233], v[22:23]
	v_add_f64 v[2:3], v[234:235], v[24:25]
	v_mul_f64 v[12:13], v[16:17], s[0:1]
	v_mul_f64 v[14:15], v[18:19], s[0:1]
	;; [unrolled: 1-line block ×6, first 2 shown]
	v_fma_f64 v[22:23], v[22:23], s[16:17], v[0:1]
	v_fma_f64 v[94:95], v[24:25], s[16:17], v[2:3]
	;; [unrolled: 1-line block ×4, first 2 shown]
	v_fma_f64 v[12:13], v[56:57], s[18:19], -v[12:13]
	v_fma_f64 v[24:25], v[58:59], s[18:19], -v[14:15]
	;; [unrolled: 1-line block ×4, first 2 shown]
	v_fma_f64 v[232:233], v[26:27], s[24:25], v[28:29]
	v_fma_f64 v[234:235], v[70:71], s[24:25], v[62:63]
	v_fma_f64 v[28:29], v[92:93], s[6:7], -v[28:29]
	v_fma_f64 v[20:21], v[20:21], s[6:7], -v[62:63]
	;; [unrolled: 1-line block ×4, first 2 shown]
	v_add_f64 v[8:9], v[16:17], v[22:23]
	v_add_f64 v[14:15], v[18:19], v[94:95]
	v_add_f64 v[10:11], v[12:13], v[22:23]
	v_add_f64 v[24:25], v[24:25], v[94:95]
	v_add_f64 v[12:13], v[56:57], v[22:23]
	v_add_f64 v[22:23], v[58:59], v[94:95]
	v_fma_f64 v[18:19], v[30:31], s[20:21], v[232:233]
	v_fma_f64 v[16:17], v[60:61], s[20:21], v[234:235]
	;; [unrolled: 1-line block ×6, first 2 shown]
	ds_write_b128 v68, v[32:35]
	ds_write_b128 v68, v[36:39] offset:2304
	ds_write_b128 v68, v[40:43] offset:4608
	;; [unrolled: 1-line block ×13, first 2 shown]
	v_add_f64 v[62:63], v[18:19], v[14:15]
	v_add_f64 v[60:61], v[8:9], -v[16:17]
	v_add_f64 v[234:235], v[24:25], -v[28:29]
	v_add_f64 v[232:233], v[20:21], v[10:11]
	v_add_f64 v[58:59], v[30:31], v[22:23]
	v_add_f64 v[56:57], v[12:13], -v[26:27]
	s_and_saveexec_b64 s[0:1], vcc
	s_cbranch_execz .LBB0_5
; %bb.4:
	v_add_f64 v[18:19], v[14:15], -v[18:19]
	v_add_f64 v[16:17], v[16:17], v[8:9]
	v_add_f64 v[6:7], v[28:29], v[24:25]
	v_add_f64 v[24:25], v[22:23], -v[30:31]
	v_add_f64 v[22:23], v[26:27], v[12:13]
	v_add_f64 v[4:5], v[10:11], -v[20:21]
	ds_write_b128 v68, v[0:3] offset:1792
	ds_write_b128 v68, v[16:19] offset:4096
	ds_write_b128 v68, v[22:25] offset:6400
	ds_write_b128 v68, v[4:7] offset:8704
	ds_write_b128 v68, v[232:235] offset:11008
	ds_write_b128 v68, v[56:59] offset:13312
	ds_write_b128 v68, v[60:63] offset:15616
.LBB0_5:
	s_or_b64 exec, exec, s[0:1]
	s_add_u32 s4, s12, 0x3f00
	s_addc_u32 s5, s13, 0
	v_lshlrev_b32_e32 v18, 4, v69
	s_waitcnt lgkmcnt(0)
	; wave barrier
	s_waitcnt lgkmcnt(0)
	global_load_dwordx4 v[8:11], v18, s[4:5]
	ds_read_b128 v[4:7], v68
	v_add_co_u32_e64 v2, s[0:1], s4, v18
	v_mov_b32_e32 v0, s5
	v_addc_co_u32_e64 v3, s[0:1], 0, v0, s[0:1]
	s_movk_i32 s0, 0x1000
	v_lshlrev_b32_e32 v70, 5, v69
	s_waitcnt vmcnt(0) lgkmcnt(0)
	v_mul_f64 v[0:1], v[6:7], v[10:11]
	v_fma_f64 v[12:13], v[4:5], v[8:9], -v[0:1]
	v_mul_f64 v[0:1], v[4:5], v[10:11]
	v_fma_f64 v[14:15], v[6:7], v[8:9], v[0:1]
	v_add_co_u32_e64 v0, s[0:1], s0, v2
	v_addc_co_u32_e64 v1, s[0:1], 0, v3, s[0:1]
	global_load_dwordx4 v[8:11], v[0:1], off offset:3968
	ds_read_b128 v[4:7], v68 offset:8064
	s_movk_i32 s0, 0x2000
	ds_write_b128 v68, v[12:15]
	v_add_co_u32_e64 v16, s[0:1], s0, v2
	v_addc_co_u32_e64 v17, s[0:1], 0, v3, s[0:1]
	s_movk_i32 s0, 0x3000
	s_waitcnt vmcnt(0) lgkmcnt(1)
	v_mul_f64 v[12:13], v[6:7], v[10:11]
	v_fma_f64 v[12:13], v[4:5], v[8:9], -v[12:13]
	v_mul_f64 v[4:5], v[4:5], v[10:11]
	v_fma_f64 v[14:15], v[6:7], v[8:9], v[4:5]
	global_load_dwordx4 v[8:11], v18, s[4:5] offset:896
	ds_read_b128 v[4:7], v68 offset:896
	ds_write_b128 v68, v[12:15] offset:8064
	s_waitcnt vmcnt(0) lgkmcnt(1)
	v_mul_f64 v[12:13], v[6:7], v[10:11]
	v_fma_f64 v[12:13], v[4:5], v[8:9], -v[12:13]
	v_mul_f64 v[4:5], v[4:5], v[10:11]
	v_fma_f64 v[14:15], v[6:7], v[8:9], v[4:5]
	global_load_dwordx4 v[8:11], v[16:17], off offset:768
	ds_read_b128 v[4:7], v68 offset:8960
	ds_write_b128 v68, v[12:15] offset:896
	s_waitcnt vmcnt(0) lgkmcnt(1)
	v_mul_f64 v[12:13], v[6:7], v[10:11]
	v_fma_f64 v[12:13], v[4:5], v[8:9], -v[12:13]
	v_mul_f64 v[4:5], v[4:5], v[10:11]
	v_fma_f64 v[14:15], v[6:7], v[8:9], v[4:5]
	global_load_dwordx4 v[8:11], v18, s[4:5] offset:1792
	ds_read_b128 v[4:7], v68 offset:1792
	ds_write_b128 v68, v[12:15] offset:8960
	s_waitcnt vmcnt(0) lgkmcnt(1)
	v_mul_f64 v[12:13], v[6:7], v[10:11]
	v_fma_f64 v[12:13], v[4:5], v[8:9], -v[12:13]
	v_mul_f64 v[4:5], v[4:5], v[10:11]
	v_fma_f64 v[14:15], v[6:7], v[8:9], v[4:5]
	global_load_dwordx4 v[8:11], v[16:17], off offset:1664
	ds_read_b128 v[4:7], v68 offset:9856
	ds_write_b128 v68, v[12:15] offset:1792
	;; [unrolled: 16-line block ×4, first 2 shown]
	s_waitcnt vmcnt(0) lgkmcnt(1)
	v_mul_f64 v[12:13], v[6:7], v[10:11]
	v_fma_f64 v[12:13], v[4:5], v[8:9], -v[12:13]
	v_mul_f64 v[4:5], v[4:5], v[10:11]
	v_fma_f64 v[14:15], v[6:7], v[8:9], v[4:5]
	global_load_dwordx4 v[8:11], v[0:1], off offset:384
	ds_read_b128 v[4:7], v68 offset:4480
	ds_write_b128 v68, v[12:15] offset:11648
	s_waitcnt vmcnt(0) lgkmcnt(1)
	v_mul_f64 v[12:13], v[6:7], v[10:11]
	v_fma_f64 v[12:13], v[4:5], v[8:9], -v[12:13]
	v_mul_f64 v[4:5], v[4:5], v[10:11]
	v_fma_f64 v[14:15], v[6:7], v[8:9], v[4:5]
	ds_read_b128 v[4:7], v68 offset:12544
	ds_write_b128 v68, v[12:15] offset:4480
	v_add_co_u32_e64 v14, s[0:1], s0, v2
	v_addc_co_u32_e64 v15, s[0:1], 0, v3, s[0:1]
	global_load_dwordx4 v[8:11], v[14:15], off offset:256
	s_mov_b32 s0, 0xe8584caa
	s_mov_b32 s1, 0xbfebb67a
	s_waitcnt vmcnt(0) lgkmcnt(1)
	v_mul_f64 v[2:3], v[6:7], v[10:11]
	v_fma_f64 v[2:3], v[4:5], v[8:9], -v[2:3]
	v_mul_f64 v[4:5], v[4:5], v[10:11]
	v_fma_f64 v[4:5], v[6:7], v[8:9], v[4:5]
	global_load_dwordx4 v[6:9], v[0:1], off offset:1280
	ds_write_b128 v68, v[2:5] offset:12544
	ds_read_b128 v[2:5], v68 offset:5376
	s_waitcnt vmcnt(0) lgkmcnt(0)
	v_mul_f64 v[10:11], v[4:5], v[8:9]
	v_fma_f64 v[10:11], v[2:3], v[6:7], -v[10:11]
	v_mul_f64 v[2:3], v[2:3], v[8:9]
	v_fma_f64 v[12:13], v[4:5], v[6:7], v[2:3]
	global_load_dwordx4 v[6:9], v[14:15], off offset:1152
	ds_read_b128 v[2:5], v68 offset:13440
	ds_write_b128 v68, v[10:13] offset:5376
	s_waitcnt vmcnt(0) lgkmcnt(1)
	v_mul_f64 v[10:11], v[4:5], v[8:9]
	v_fma_f64 v[10:11], v[2:3], v[6:7], -v[10:11]
	v_mul_f64 v[2:3], v[2:3], v[8:9]
	v_fma_f64 v[12:13], v[4:5], v[6:7], v[2:3]
	global_load_dwordx4 v[6:9], v[0:1], off offset:2176
	ds_read_b128 v[2:5], v68 offset:6272
	ds_write_b128 v68, v[10:13] offset:13440
	s_waitcnt vmcnt(0) lgkmcnt(1)
	v_mul_f64 v[0:1], v[4:5], v[8:9]
	v_fma_f64 v[0:1], v[2:3], v[6:7], -v[0:1]
	v_mul_f64 v[2:3], v[2:3], v[8:9]
	v_fma_f64 v[2:3], v[4:5], v[6:7], v[2:3]
	buffer_load_dword v4, off, s[28:31], 0 offset:508 ; 4-byte Folded Reload
	ds_write_b128 v68, v[0:3] offset:6272
	ds_read_b128 v[0:3], v68 offset:14336
	s_waitcnt vmcnt(0)
	global_load_dwordx4 v[4:7], v4, s[4:5]
	s_waitcnt vmcnt(0) lgkmcnt(0)
	v_mul_f64 v[8:9], v[2:3], v[6:7]
	v_fma_f64 v[8:9], v[0:1], v[4:5], -v[8:9]
	v_mul_f64 v[0:1], v[0:1], v[6:7]
	v_fma_f64 v[10:11], v[2:3], v[4:5], v[0:1]
	buffer_load_dword v4, off, s[28:31], 0 offset:512 ; 4-byte Folded Reload
	ds_read_b128 v[0:3], v68 offset:7168
	ds_write_b128 v68, v[8:11] offset:14336
	s_waitcnt vmcnt(0)
	global_load_dwordx4 v[4:7], v4, s[4:5]
	s_mov_b32 s5, 0x3febb67a
	s_mov_b32 s4, s0
	s_waitcnt vmcnt(0) lgkmcnt(1)
	v_mul_f64 v[8:9], v[2:3], v[6:7]
	v_fma_f64 v[8:9], v[0:1], v[4:5], -v[8:9]
	v_mul_f64 v[0:1], v[0:1], v[6:7]
	v_fma_f64 v[10:11], v[2:3], v[4:5], v[0:1]
	global_load_dwordx4 v[4:7], v[14:15], off offset:2944
	ds_read_b128 v[0:3], v68 offset:15232
	ds_write_b128 v68, v[8:11] offset:7168
	s_waitcnt vmcnt(0) lgkmcnt(1)
	v_mul_f64 v[8:9], v[2:3], v[6:7]
	v_fma_f64 v[8:9], v[0:1], v[4:5], -v[8:9]
	v_mul_f64 v[0:1], v[0:1], v[6:7]
	v_fma_f64 v[10:11], v[2:3], v[4:5], v[0:1]
	ds_write_b128 v68, v[8:11] offset:15232
	s_waitcnt lgkmcnt(0)
	; wave barrier
	s_waitcnt lgkmcnt(0)
	ds_read_b128 v[0:3], v68
	ds_read_b128 v[4:7], v68 offset:8064
	ds_read_b128 v[8:11], v68 offset:896
	;; [unrolled: 1-line block ×17, first 2 shown]
	s_waitcnt lgkmcnt(14)
	v_add_f64 v[4:5], v[0:1], -v[4:5]
	v_add_f64 v[6:7], v[2:3], -v[6:7]
	s_waitcnt lgkmcnt(0)
	; wave barrier
	s_waitcnt lgkmcnt(0)
	v_add_f64 v[12:13], v[8:9], -v[12:13]
	v_add_f64 v[14:15], v[10:11], -v[14:15]
	;; [unrolled: 1-line block ×4, first 2 shown]
	v_fma_f64 v[0:1], v[0:1], 2.0, -v[4:5]
	v_fma_f64 v[2:3], v[2:3], 2.0, -v[6:7]
	ds_write_b128 v70, v[0:3]
	ds_write_b128 v70, v[4:7] offset:16
	buffer_load_dword v0, off, s[28:31], 0 offset:476 ; 4-byte Folded Reload
	v_fma_f64 v[8:9], v[8:9], 2.0, -v[12:13]
	v_fma_f64 v[10:11], v[10:11], 2.0, -v[14:15]
	;; [unrolled: 1-line block ×4, first 2 shown]
	v_add_f64 v[28:29], v[24:25], -v[28:29]
	v_add_f64 v[30:31], v[26:27], -v[30:31]
	v_add_f64 v[36:37], v[32:33], -v[36:37]
	v_add_f64 v[38:39], v[34:35], -v[38:39]
	v_add_f64 v[44:45], v[40:41], -v[44:45]
	v_add_f64 v[46:47], v[42:43], -v[46:47]
	v_add_f64 v[52:53], v[48:49], -v[52:53]
	v_add_f64 v[54:55], v[50:51], -v[54:55]
	v_fma_f64 v[24:25], v[24:25], 2.0, -v[28:29]
	v_fma_f64 v[26:27], v[26:27], 2.0, -v[30:31]
	v_fma_f64 v[32:33], v[32:33], 2.0, -v[36:37]
	v_fma_f64 v[34:35], v[34:35], 2.0, -v[38:39]
	v_fma_f64 v[40:41], v[40:41], 2.0, -v[44:45]
	v_fma_f64 v[42:43], v[42:43], 2.0, -v[46:47]
	v_fma_f64 v[48:49], v[48:49], 2.0, -v[52:53]
	v_fma_f64 v[50:51], v[50:51], 2.0, -v[54:55]
	v_add_f64 v[76:77], v[64:65], -v[76:77]
	v_add_f64 v[78:79], v[66:67], -v[78:79]
	;; [unrolled: 1-line block ×4, first 2 shown]
	s_waitcnt vmcnt(0)
	ds_write_b128 v0, v[8:11]
	ds_write_b128 v0, v[12:15] offset:16
	buffer_load_dword v0, off, s[28:31], 0 offset:480 ; 4-byte Folded Reload
	v_fma_f64 v[64:65], v[64:65], 2.0, -v[76:77]
	v_fma_f64 v[66:67], v[66:67], 2.0, -v[78:79]
	;; [unrolled: 1-line block ×4, first 2 shown]
	s_waitcnt vmcnt(0)
	ds_write_b128 v0, v[16:19]
	ds_write_b128 v0, v[20:23] offset:16
	buffer_load_dword v0, off, s[28:31], 0 offset:484 ; 4-byte Folded Reload
	s_waitcnt vmcnt(0)
	ds_write_b128 v0, v[24:27]
	ds_write_b128 v0, v[28:31] offset:16
	buffer_load_dword v0, off, s[28:31], 0 offset:488 ; 4-byte Folded Reload
	;; [unrolled: 4-line block ×6, first 2 shown]
	s_waitcnt vmcnt(0)
	ds_write_b128 v0, v[80:83]
	ds_write_b128 v0, v[84:87] offset:16
	s_waitcnt lgkmcnt(0)
	; wave barrier
	s_waitcnt lgkmcnt(0)
	ds_read_b128 v[0:3], v68
	ds_read_b128 v[4:7], v68 offset:8064
	ds_read_b128 v[8:11], v68 offset:896
	;; [unrolled: 1-line block ×17, first 2 shown]
	s_waitcnt lgkmcnt(14)
	v_mul_f64 v[70:71], v[230:231], v[6:7]
	s_waitcnt lgkmcnt(0)
	; wave barrier
	s_waitcnt lgkmcnt(0)
	v_fma_f64 v[70:71], v[228:229], v[4:5], v[70:71]
	v_mul_f64 v[4:5], v[230:231], v[4:5]
	v_fma_f64 v[6:7], v[228:229], v[6:7], -v[4:5]
	v_mul_f64 v[4:5], v[230:231], v[14:15]
	v_add_f64 v[6:7], v[2:3], -v[6:7]
	v_fma_f64 v[92:93], v[228:229], v[12:13], v[4:5]
	v_mul_f64 v[4:5], v[230:231], v[12:13]
	v_fma_f64 v[2:3], v[2:3], 2.0, -v[6:7]
	v_add_f64 v[12:13], v[8:9], -v[92:93]
	v_fma_f64 v[14:15], v[228:229], v[14:15], -v[4:5]
	v_mul_f64 v[4:5], v[230:231], v[22:23]
	v_fma_f64 v[8:9], v[8:9], 2.0, -v[12:13]
	v_add_f64 v[14:15], v[10:11], -v[14:15]
	v_fma_f64 v[94:95], v[228:229], v[20:21], v[4:5]
	v_mul_f64 v[4:5], v[230:231], v[20:21]
	v_fma_f64 v[10:11], v[10:11], 2.0, -v[14:15]
	v_add_f64 v[20:21], v[16:17], -v[94:95]
	v_fma_f64 v[22:23], v[228:229], v[22:23], -v[4:5]
	v_mul_f64 v[4:5], v[230:231], v[30:31]
	v_fma_f64 v[16:17], v[16:17], 2.0, -v[20:21]
	;; [unrolled: 8-line block ×7, first 2 shown]
	v_add_f64 v[78:79], v[66:67], -v[78:79]
	v_fma_f64 v[246:247], v[228:229], v[84:85], v[4:5]
	v_mul_f64 v[4:5], v[230:231], v[84:85]
	v_fma_f64 v[66:67], v[66:67], 2.0, -v[78:79]
	v_add_f64 v[84:85], v[80:81], -v[246:247]
	v_fma_f64 v[86:87], v[228:229], v[86:87], -v[4:5]
	v_add_f64 v[4:5], v[0:1], -v[70:71]
	buffer_load_dword v70, off, s[28:31], 0 offset:440 ; 4-byte Folded Reload
	v_fma_f64 v[80:81], v[80:81], 2.0, -v[84:85]
	v_add_f64 v[86:87], v[82:83], -v[86:87]
	v_fma_f64 v[0:1], v[0:1], 2.0, -v[4:5]
	s_waitcnt vmcnt(0)
	ds_write_b128 v70, v[0:3]
	ds_write_b128 v70, v[4:7] offset:32
	buffer_load_dword v0, off, s[28:31], 0 offset:444 ; 4-byte Folded Reload
	v_fma_f64 v[82:83], v[82:83], 2.0, -v[86:87]
	s_waitcnt vmcnt(0)
	ds_write_b128 v0, v[8:11]
	ds_write_b128 v0, v[12:15] offset:32
	buffer_load_dword v0, off, s[28:31], 0 offset:448 ; 4-byte Folded Reload
	s_waitcnt vmcnt(0)
	ds_write_b128 v0, v[16:19]
	ds_write_b128 v0, v[20:23] offset:32
	buffer_load_dword v0, off, s[28:31], 0 offset:452 ; 4-byte Folded Reload
	;; [unrolled: 4-line block ×7, first 2 shown]
	s_waitcnt vmcnt(0)
	ds_write_b128 v0, v[80:83]
	ds_write_b128 v0, v[84:87] offset:32
	s_waitcnt lgkmcnt(0)
	; wave barrier
	s_waitcnt lgkmcnt(0)
	ds_read_b128 v[0:3], v68
	ds_read_b128 v[4:7], v68 offset:8064
	ds_read_b128 v[8:11], v68 offset:896
	;; [unrolled: 1-line block ×17, first 2 shown]
	s_waitcnt lgkmcnt(14)
	v_mul_f64 v[70:71], v[222:223], v[6:7]
	s_waitcnt lgkmcnt(0)
	; wave barrier
	s_waitcnt lgkmcnt(0)
	v_fma_f64 v[70:71], v[220:221], v[4:5], v[70:71]
	v_mul_f64 v[4:5], v[222:223], v[4:5]
	v_fma_f64 v[6:7], v[220:221], v[6:7], -v[4:5]
	v_mul_f64 v[4:5], v[222:223], v[14:15]
	v_add_f64 v[6:7], v[2:3], -v[6:7]
	v_fma_f64 v[92:93], v[220:221], v[12:13], v[4:5]
	v_mul_f64 v[4:5], v[222:223], v[12:13]
	v_fma_f64 v[2:3], v[2:3], 2.0, -v[6:7]
	v_add_f64 v[12:13], v[8:9], -v[92:93]
	v_fma_f64 v[14:15], v[220:221], v[14:15], -v[4:5]
	v_mul_f64 v[4:5], v[222:223], v[22:23]
	v_fma_f64 v[8:9], v[8:9], 2.0, -v[12:13]
	v_add_f64 v[14:15], v[10:11], -v[14:15]
	v_fma_f64 v[94:95], v[220:221], v[20:21], v[4:5]
	v_mul_f64 v[4:5], v[222:223], v[20:21]
	v_fma_f64 v[10:11], v[10:11], 2.0, -v[14:15]
	v_add_f64 v[20:21], v[16:17], -v[94:95]
	v_fma_f64 v[22:23], v[220:221], v[22:23], -v[4:5]
	v_mul_f64 v[4:5], v[222:223], v[30:31]
	v_fma_f64 v[16:17], v[16:17], 2.0, -v[20:21]
	v_add_f64 v[22:23], v[18:19], -v[22:23]
	v_fma_f64 v[228:229], v[220:221], v[28:29], v[4:5]
	v_mul_f64 v[4:5], v[222:223], v[28:29]
	v_fma_f64 v[18:19], v[18:19], 2.0, -v[22:23]
	v_add_f64 v[28:29], v[24:25], -v[228:229]
	v_fma_f64 v[30:31], v[220:221], v[30:31], -v[4:5]
	v_mul_f64 v[4:5], v[222:223], v[38:39]
	v_fma_f64 v[24:25], v[24:25], 2.0, -v[28:29]
	v_add_f64 v[30:31], v[26:27], -v[30:31]
	v_fma_f64 v[230:231], v[220:221], v[36:37], v[4:5]
	v_mul_f64 v[4:5], v[222:223], v[36:37]
	v_fma_f64 v[26:27], v[26:27], 2.0, -v[30:31]
	v_add_f64 v[36:37], v[32:33], -v[230:231]
	v_fma_f64 v[38:39], v[220:221], v[38:39], -v[4:5]
	v_mul_f64 v[4:5], v[222:223], v[46:47]
	v_fma_f64 v[32:33], v[32:33], 2.0, -v[36:37]
	v_add_f64 v[38:39], v[34:35], -v[38:39]
	v_fma_f64 v[236:237], v[220:221], v[44:45], v[4:5]
	v_mul_f64 v[4:5], v[222:223], v[44:45]
	v_fma_f64 v[34:35], v[34:35], 2.0, -v[38:39]
	v_add_f64 v[44:45], v[40:41], -v[236:237]
	v_fma_f64 v[46:47], v[220:221], v[46:47], -v[4:5]
	v_mul_f64 v[4:5], v[222:223], v[54:55]
	v_fma_f64 v[40:41], v[40:41], 2.0, -v[44:45]
	v_add_f64 v[46:47], v[42:43], -v[46:47]
	v_fma_f64 v[238:239], v[220:221], v[52:53], v[4:5]
	v_mul_f64 v[4:5], v[222:223], v[52:53]
	v_fma_f64 v[42:43], v[42:43], 2.0, -v[46:47]
	v_add_f64 v[52:53], v[48:49], -v[238:239]
	v_fma_f64 v[54:55], v[220:221], v[54:55], -v[4:5]
	v_mul_f64 v[4:5], v[222:223], v[78:79]
	v_fma_f64 v[48:49], v[48:49], 2.0, -v[52:53]
	v_add_f64 v[54:55], v[50:51], -v[54:55]
	v_fma_f64 v[240:241], v[220:221], v[76:77], v[4:5]
	v_mul_f64 v[4:5], v[222:223], v[76:77]
	v_fma_f64 v[50:51], v[50:51], 2.0, -v[54:55]
	v_add_f64 v[76:77], v[64:65], -v[240:241]
	v_fma_f64 v[78:79], v[220:221], v[78:79], -v[4:5]
	v_mul_f64 v[4:5], v[222:223], v[86:87]
	v_fma_f64 v[64:65], v[64:65], 2.0, -v[76:77]
	v_add_f64 v[78:79], v[66:67], -v[78:79]
	v_fma_f64 v[242:243], v[220:221], v[84:85], v[4:5]
	v_mul_f64 v[4:5], v[222:223], v[84:85]
	v_fma_f64 v[66:67], v[66:67], 2.0, -v[78:79]
	v_add_f64 v[84:85], v[80:81], -v[242:243]
	v_fma_f64 v[86:87], v[220:221], v[86:87], -v[4:5]
	v_add_f64 v[4:5], v[0:1], -v[70:71]
	buffer_load_dword v70, off, s[28:31], 0 offset:404 ; 4-byte Folded Reload
	v_fma_f64 v[80:81], v[80:81], 2.0, -v[84:85]
	v_add_f64 v[86:87], v[82:83], -v[86:87]
	v_fma_f64 v[0:1], v[0:1], 2.0, -v[4:5]
	s_waitcnt vmcnt(0)
	ds_write_b128 v70, v[0:3]
	ds_write_b128 v70, v[4:7] offset:64
	buffer_load_dword v0, off, s[28:31], 0 offset:408 ; 4-byte Folded Reload
	s_waitcnt vmcnt(0)
	ds_write_b128 v0, v[8:11]
	ds_write_b128 v0, v[12:15] offset:64
	buffer_load_dword v0, off, s[28:31], 0 offset:412 ; 4-byte Folded Reload
	;; [unrolled: 4-line block ×8, first 2 shown]
	v_fma_f64 v[82:83], v[82:83], 2.0, -v[86:87]
	s_waitcnt vmcnt(0)
	ds_write_b128 v0, v[80:83]
	ds_write_b128 v0, v[84:87] offset:64
	s_waitcnt lgkmcnt(0)
	; wave barrier
	s_waitcnt lgkmcnt(0)
	ds_read_b128 v[0:3], v68
	ds_read_b128 v[4:7], v68 offset:8064
	ds_read_b128 v[8:11], v68 offset:896
	;; [unrolled: 1-line block ×17, first 2 shown]
	s_waitcnt lgkmcnt(14)
	v_mul_f64 v[70:71], v[198:199], v[6:7]
	s_waitcnt lgkmcnt(0)
	; wave barrier
	s_waitcnt lgkmcnt(0)
	v_fma_f64 v[70:71], v[196:197], v[4:5], v[70:71]
	v_mul_f64 v[4:5], v[198:199], v[4:5]
	v_fma_f64 v[6:7], v[196:197], v[6:7], -v[4:5]
	v_mul_f64 v[4:5], v[198:199], v[14:15]
	v_add_f64 v[6:7], v[2:3], -v[6:7]
	v_fma_f64 v[92:93], v[196:197], v[12:13], v[4:5]
	v_mul_f64 v[4:5], v[198:199], v[12:13]
	v_fma_f64 v[2:3], v[2:3], 2.0, -v[6:7]
	v_add_f64 v[12:13], v[8:9], -v[92:93]
	v_fma_f64 v[14:15], v[196:197], v[14:15], -v[4:5]
	v_mul_f64 v[4:5], v[198:199], v[22:23]
	v_fma_f64 v[8:9], v[8:9], 2.0, -v[12:13]
	v_add_f64 v[14:15], v[10:11], -v[14:15]
	v_fma_f64 v[94:95], v[196:197], v[20:21], v[4:5]
	v_mul_f64 v[4:5], v[198:199], v[20:21]
	v_fma_f64 v[10:11], v[10:11], 2.0, -v[14:15]
	v_add_f64 v[20:21], v[16:17], -v[94:95]
	v_fma_f64 v[22:23], v[196:197], v[22:23], -v[4:5]
	v_mul_f64 v[4:5], v[198:199], v[30:31]
	v_fma_f64 v[16:17], v[16:17], 2.0, -v[20:21]
	;; [unrolled: 8-line block ×7, first 2 shown]
	v_add_f64 v[78:79], v[66:67], -v[78:79]
	v_fma_f64 v[238:239], v[196:197], v[84:85], v[4:5]
	v_mul_f64 v[4:5], v[198:199], v[84:85]
	v_fma_f64 v[66:67], v[66:67], 2.0, -v[78:79]
	v_add_f64 v[84:85], v[80:81], -v[238:239]
	v_fma_f64 v[86:87], v[196:197], v[86:87], -v[4:5]
	v_add_f64 v[4:5], v[0:1], -v[70:71]
	buffer_load_dword v70, off, s[28:31], 0 offset:360 ; 4-byte Folded Reload
	v_fma_f64 v[80:81], v[80:81], 2.0, -v[84:85]
	v_add_f64 v[86:87], v[82:83], -v[86:87]
	v_fma_f64 v[0:1], v[0:1], 2.0, -v[4:5]
	s_waitcnt vmcnt(0)
	ds_write_b128 v70, v[0:3]
	ds_write_b128 v70, v[4:7] offset:128
	buffer_load_dword v0, off, s[28:31], 0 offset:364 ; 4-byte Folded Reload
	s_waitcnt vmcnt(0)
	ds_write_b128 v0, v[8:11]
	ds_write_b128 v0, v[12:15] offset:128
	buffer_load_dword v0, off, s[28:31], 0 offset:368 ; 4-byte Folded Reload
	;; [unrolled: 4-line block ×8, first 2 shown]
	v_fma_f64 v[82:83], v[82:83], 2.0, -v[86:87]
	s_waitcnt vmcnt(0)
	ds_write_b128 v0, v[80:83]
	ds_write_b128 v0, v[84:87] offset:128
	s_waitcnt lgkmcnt(0)
	; wave barrier
	s_waitcnt lgkmcnt(0)
	ds_read_b128 v[0:3], v68
	ds_read_b128 v[4:7], v68 offset:5376
	ds_read_b128 v[8:11], v68 offset:10752
	;; [unrolled: 1-line block ×17, first 2 shown]
	s_waitcnt lgkmcnt(14)
	v_mul_f64 v[70:71], v[154:155], v[6:7]
	v_fma_f64 v[70:71], v[152:153], v[4:5], v[70:71]
	v_mul_f64 v[4:5], v[154:155], v[4:5]
	v_fma_f64 v[76:77], v[152:153], v[6:7], -v[4:5]
	buffer_load_dword v6, off, s[28:31], 0 offset:396 ; 4-byte Folded Reload
	buffer_load_dword v7, off, s[28:31], 0 offset:400 ; 4-byte Folded Reload
	v_mul_f64 v[4:5], v[146:147], v[10:11]
	v_fma_f64 v[78:79], v[144:145], v[8:9], v[4:5]
	v_mul_f64 v[4:5], v[146:147], v[8:9]
	v_fma_f64 v[10:11], v[144:145], v[10:11], -v[4:5]
	s_waitcnt lgkmcnt(13)
	v_mul_f64 v[4:5], v[158:159], v[18:19]
	v_add_f64 v[8:9], v[76:77], -v[10:11]
	s_waitcnt vmcnt(0)
	v_fma_f64 v[80:81], v[6:7], v[16:17], v[4:5]
	v_mul_f64 v[4:5], v[158:159], v[16:17]
	v_add_f64 v[16:17], v[70:71], -v[78:79]
	v_fma_f64 v[82:83], v[6:7], v[18:19], -v[4:5]
	s_waitcnt lgkmcnt(12)
	v_mul_f64 v[4:5], v[178:179], v[22:23]
	buffer_load_dword v6, off, s[28:31], 0 offset:352 ; 4-byte Folded Reload
	buffer_load_dword v7, off, s[28:31], 0 offset:356 ; 4-byte Folded Reload
	s_waitcnt lgkmcnt(0)
	; wave barrier
	s_waitcnt lgkmcnt(0)
	v_fma_f64 v[84:85], v[190:191], v[20:21], v[4:5]
	v_mul_f64 v[4:5], v[178:179], v[20:21]
	v_add_f64 v[18:19], v[80:81], v[84:85]
	v_fma_f64 v[22:23], v[190:191], v[22:23], -v[4:5]
	v_mul_f64 v[4:5], v[154:155], v[30:31]
	v_fma_f64 v[18:19], v[18:19], -0.5, v[12:13]
	v_add_f64 v[20:21], v[82:83], -v[22:23]
	v_fma_f64 v[86:87], v[152:153], v[28:29], v[4:5]
	v_mul_f64 v[4:5], v[154:155], v[28:29]
	v_add_f64 v[28:29], v[80:81], -v[84:85]
	v_fma_f64 v[92:93], v[152:153], v[30:31], -v[4:5]
	v_mul_f64 v[4:5], v[146:147], v[34:35]
	v_fma_f64 v[94:95], v[144:145], v[32:33], v[4:5]
	v_mul_f64 v[4:5], v[146:147], v[32:33]
	v_add_f64 v[30:31], v[86:87], v[94:95]
	v_fma_f64 v[34:35], v[144:145], v[34:35], -v[4:5]
	v_mul_f64 v[4:5], v[206:207], v[38:39]
	v_fma_f64 v[30:31], v[30:31], -0.5, v[24:25]
	v_add_f64 v[32:33], v[92:93], -v[34:35]
	v_fma_f64 v[158:159], v[204:205], v[36:37], v[4:5]
	v_mul_f64 v[4:5], v[206:207], v[36:37]
	v_add_f64 v[36:37], v[86:87], -v[94:95]
	v_fma_f64 v[178:179], v[204:205], v[38:39], -v[4:5]
	v_mul_f64 v[4:5], v[202:203], v[42:43]
	v_fma_f64 v[190:191], v[200:201], v[40:41], v[4:5]
	v_mul_f64 v[4:5], v[202:203], v[40:41]
	v_add_f64 v[38:39], v[158:159], v[190:191]
	v_fma_f64 v[42:43], v[200:201], v[42:43], -v[4:5]
	v_mul_f64 v[4:5], v[154:155], v[46:47]
	v_fma_f64 v[38:39], v[38:39], -0.5, v[228:229]
	v_fma_f64 v[200:201], v[152:153], v[44:45], v[4:5]
	v_mul_f64 v[4:5], v[154:155], v[44:45]
	v_add_f64 v[44:45], v[178:179], -v[42:43]
	v_fma_f64 v[152:153], v[152:153], v[46:47], -v[4:5]
	v_mul_f64 v[4:5], v[146:147], v[50:51]
	v_fma_f64 v[40:41], v[44:45], s[0:1], v[38:39]
	v_fma_f64 v[44:45], v[44:45], s[4:5], v[38:39]
	v_add_f64 v[38:39], v[230:231], v[178:179]
	v_fma_f64 v[154:155], v[144:145], v[48:49], v[4:5]
	v_mul_f64 v[4:5], v[146:147], v[48:49]
	v_add_f64 v[48:49], v[158:159], -v[190:191]
	v_add_f64 v[38:39], v[38:39], v[42:43]
	v_add_f64 v[42:43], v[178:179], v[42:43]
	v_fma_f64 v[144:145], v[144:145], v[50:51], -v[4:5]
	v_mul_f64 v[4:5], v[188:189], v[54:55]
	v_add_f64 v[50:51], v[200:201], v[154:155]
	v_fma_f64 v[46:47], v[42:43], -0.5, v[230:231]
	v_fma_f64 v[146:147], v[156:157], v[52:53], v[4:5]
	v_mul_f64 v[4:5], v[188:189], v[52:53]
	v_fma_f64 v[50:51], v[50:51], -0.5, v[220:221]
	v_fma_f64 v[42:43], v[48:49], s[4:5], v[46:47]
	v_fma_f64 v[46:47], v[48:49], s[0:1], v[46:47]
	v_add_f64 v[48:49], v[220:221], v[200:201]
	v_fma_f64 v[156:157], v[156:157], v[54:55], -v[4:5]
	s_waitcnt vmcnt(0)
	v_mul_f64 v[4:5], v[6:7], v[66:67]
	v_add_f64 v[54:55], v[152:153], -v[144:145]
	v_add_f64 v[48:49], v[48:49], v[154:155]
	v_fma_f64 v[188:189], v[176:177], v[64:65], v[4:5]
	v_mul_f64 v[4:5], v[6:7], v[64:65]
	v_add_f64 v[6:7], v[70:71], v[78:79]
	v_fma_f64 v[52:53], v[54:55], s[0:1], v[50:51]
	v_fma_f64 v[64:65], v[54:55], s[4:5], v[50:51]
	v_add_f64 v[54:55], v[152:153], v[144:145]
	v_add_f64 v[50:51], v[222:223], v[152:153]
	v_fma_f64 v[176:177], v[176:177], v[66:67], -v[4:5]
	v_fma_f64 v[6:7], v[6:7], -0.5, v[0:1]
	v_add_f64 v[4:5], v[0:1], v[70:71]
	v_add_f64 v[70:71], v[200:201], -v[154:155]
	v_fma_f64 v[66:67], v[54:55], -0.5, v[222:223]
	v_add_f64 v[50:51], v[50:51], v[144:145]
	v_fma_f64 v[0:1], v[8:9], s[0:1], v[6:7]
	v_fma_f64 v[8:9], v[8:9], s[4:5], v[6:7]
	v_add_f64 v[6:7], v[2:3], v[76:77]
	v_fma_f64 v[54:55], v[70:71], s[4:5], v[66:67]
	v_fma_f64 v[66:67], v[70:71], s[0:1], v[66:67]
	v_add_f64 v[70:71], v[196:197], v[146:147]
	v_add_f64 v[4:5], v[4:5], v[78:79]
	v_add_f64 v[78:79], v[156:157], -v[176:177]
	v_add_f64 v[6:7], v[6:7], v[10:11]
	v_add_f64 v[10:11], v[76:77], v[10:11]
	;; [unrolled: 1-line block ×4, first 2 shown]
	v_fma_f64 v[10:11], v[10:11], -0.5, v[2:3]
	v_fma_f64 v[70:71], v[70:71], -0.5, v[196:197]
	v_fma_f64 v[2:3], v[16:17], s[4:5], v[10:11]
	v_fma_f64 v[10:11], v[16:17], s[0:1], v[10:11]
	v_add_f64 v[16:17], v[12:13], v[80:81]
	v_fma_f64 v[12:13], v[20:21], s[0:1], v[18:19]
	v_fma_f64 v[20:21], v[20:21], s[4:5], v[18:19]
	v_add_f64 v[18:19], v[14:15], v[82:83]
	v_fma_f64 v[80:81], v[78:79], s[0:1], v[70:71]
	v_add_f64 v[16:17], v[16:17], v[84:85]
	;; [unrolled: 2-line block ×3, first 2 shown]
	v_add_f64 v[18:19], v[18:19], v[22:23]
	v_add_f64 v[22:23], v[82:83], v[22:23]
	;; [unrolled: 1-line block ×4, first 2 shown]
	v_fma_f64 v[22:23], v[22:23], -0.5, v[14:15]
	v_fma_f64 v[70:71], v[70:71], -0.5, v[198:199]
	v_fma_f64 v[14:15], v[28:29], s[4:5], v[22:23]
	v_fma_f64 v[22:23], v[28:29], s[0:1], v[22:23]
	v_add_f64 v[28:29], v[24:25], v[86:87]
	v_add_f64 v[86:87], v[146:147], -v[188:189]
	v_fma_f64 v[24:25], v[32:33], s[0:1], v[30:31]
	v_fma_f64 v[32:33], v[32:33], s[4:5], v[30:31]
	v_add_f64 v[30:31], v[26:27], v[92:93]
	v_add_f64 v[28:29], v[28:29], v[94:95]
	v_fma_f64 v[82:83], v[86:87], s[4:5], v[70:71]
	v_fma_f64 v[86:87], v[86:87], s[0:1], v[70:71]
	buffer_load_dword v70, off, s[28:31], 0 offset:328 ; 4-byte Folded Reload
	s_waitcnt vmcnt(0)
	ds_write_b128 v70, v[4:7]
	ds_write_b128 v70, v[0:3] offset:256
	ds_write_b128 v70, v[8:11] offset:512
	buffer_load_dword v0, off, s[28:31], 0 offset:332 ; 4-byte Folded Reload
	s_waitcnt vmcnt(0)
	ds_write_b128 v0, v[16:19]
	ds_write_b128 v0, v[12:15] offset:256
	ds_write_b128 v0, v[20:23] offset:512
	buffer_load_dword v0, off, s[28:31], 0 offset:336 ; 4-byte Folded Reload
	v_add_f64 v[30:31], v[30:31], v[34:35]
	v_add_f64 v[34:35], v[92:93], v[34:35]
	v_fma_f64 v[34:35], v[34:35], -0.5, v[26:27]
	v_fma_f64 v[26:27], v[36:37], s[4:5], v[34:35]
	v_fma_f64 v[34:35], v[36:37], s[0:1], v[34:35]
	s_waitcnt vmcnt(0)
	ds_write_b128 v0, v[28:31]
	ds_write_b128 v0, v[24:27] offset:256
	ds_write_b128 v0, v[32:35] offset:512
	buffer_load_dword v0, off, s[28:31], 0 offset:340 ; 4-byte Folded Reload
	v_add_f64 v[36:37], v[228:229], v[158:159]
	v_add_f64 v[36:37], v[36:37], v[190:191]
	s_waitcnt vmcnt(0)
	ds_write_b128 v0, v[36:39]
	ds_write_b128 v0, v[40:43] offset:256
	ds_write_b128 v0, v[44:47] offset:512
	buffer_load_dword v0, off, s[28:31], 0 offset:344 ; 4-byte Folded Reload
	s_waitcnt vmcnt(0)
	ds_write_b128 v0, v[48:51]
	ds_write_b128 v0, v[52:55] offset:256
	ds_write_b128 v0, v[64:67] offset:512
	buffer_load_dword v0, off, s[28:31], 0 offset:348 ; 4-byte Folded Reload
	s_waitcnt vmcnt(0)
	ds_write_b128 v0, v[76:79]
	ds_write_b128 v0, v[80:83] offset:256
	ds_write_b128 v0, v[84:87] offset:512
	s_waitcnt lgkmcnt(0)
	; wave barrier
	s_waitcnt lgkmcnt(0)
	ds_read_b128 v[0:3], v68
	ds_read_b128 v[4:7], v68 offset:5376
	ds_read_b128 v[8:11], v68 offset:10752
	;; [unrolled: 1-line block ×17, first 2 shown]
	s_waitcnt lgkmcnt(14)
	v_mul_f64 v[70:71], v[166:167], v[6:7]
	s_waitcnt lgkmcnt(0)
	; wave barrier
	s_waitcnt lgkmcnt(0)
	v_fma_f64 v[70:71], v[164:165], v[4:5], v[70:71]
	v_mul_f64 v[4:5], v[166:167], v[4:5]
	v_fma_f64 v[80:81], v[164:165], v[6:7], -v[4:5]
	v_mul_f64 v[4:5], v[150:151], v[10:11]
	v_fma_f64 v[82:83], v[148:149], v[8:9], v[4:5]
	v_mul_f64 v[4:5], v[150:151], v[8:9]
	v_add_f64 v[6:7], v[70:71], v[82:83]
	v_fma_f64 v[10:11], v[148:149], v[10:11], -v[4:5]
	v_mul_f64 v[4:5], v[170:171], v[18:19]
	v_fma_f64 v[6:7], v[6:7], -0.5, v[0:1]
	v_add_f64 v[8:9], v[80:81], -v[10:11]
	v_fma_f64 v[84:85], v[168:169], v[16:17], v[4:5]
	v_mul_f64 v[4:5], v[170:171], v[16:17]
	v_add_f64 v[16:17], v[70:71], -v[82:83]
	v_fma_f64 v[86:87], v[168:169], v[18:19], -v[4:5]
	v_mul_f64 v[4:5], v[162:163], v[22:23]
	v_fma_f64 v[92:93], v[160:161], v[20:21], v[4:5]
	v_mul_f64 v[4:5], v[162:163], v[20:21]
	v_add_f64 v[18:19], v[84:85], v[92:93]
	v_fma_f64 v[22:23], v[160:161], v[22:23], -v[4:5]
	v_mul_f64 v[4:5], v[186:187], v[30:31]
	v_fma_f64 v[18:19], v[18:19], -0.5, v[12:13]
	v_add_f64 v[20:21], v[86:87], -v[22:23]
	v_fma_f64 v[94:95], v[184:185], v[28:29], v[4:5]
	v_mul_f64 v[4:5], v[186:187], v[28:29]
	v_add_f64 v[28:29], v[84:85], -v[92:93]
	;; [unrolled: 12-line block ×4, first 2 shown]
	v_fma_f64 v[164:165], v[208:209], v[50:51], -v[4:5]
	v_mul_f64 v[4:5], v[214:215], v[54:55]
	v_fma_f64 v[166:167], v[212:213], v[52:53], v[4:5]
	v_mul_f64 v[4:5], v[214:215], v[52:53]
	v_add_f64 v[50:51], v[162:163], v[166:167]
	v_fma_f64 v[54:55], v[212:213], v[54:55], -v[4:5]
	v_mul_f64 v[4:5], v[218:219], v[66:67]
	v_fma_f64 v[50:51], v[50:51], -0.5, v[144:145]
	v_fma_f64 v[168:169], v[216:217], v[64:65], v[4:5]
	v_mul_f64 v[4:5], v[218:219], v[64:65]
	v_fma_f64 v[64:65], v[216:217], v[66:67], -v[4:5]
	v_mul_f64 v[4:5], v[226:227], v[78:79]
	v_fma_f64 v[66:67], v[224:225], v[76:77], v[4:5]
	v_mul_f64 v[4:5], v[226:227], v[76:77]
	v_fma_f64 v[76:77], v[224:225], v[78:79], -v[4:5]
	v_add_f64 v[4:5], v[0:1], v[70:71]
	v_fma_f64 v[0:1], v[8:9], s[0:1], v[6:7]
	v_fma_f64 v[8:9], v[8:9], s[4:5], v[6:7]
	v_add_f64 v[6:7], v[2:3], v[80:81]
	v_add_f64 v[70:71], v[164:165], -v[54:55]
	v_add_f64 v[78:79], v[162:163], -v[166:167]
	v_add_f64 v[4:5], v[4:5], v[82:83]
	v_add_f64 v[6:7], v[6:7], v[10:11]
	v_add_f64 v[10:11], v[80:81], v[10:11]
	v_fma_f64 v[52:53], v[70:71], s[0:1], v[50:51]
	v_fma_f64 v[10:11], v[10:11], -0.5, v[2:3]
	v_fma_f64 v[2:3], v[16:17], s[4:5], v[10:11]
	v_fma_f64 v[10:11], v[16:17], s[0:1], v[10:11]
	v_add_f64 v[16:17], v[12:13], v[84:85]
	v_fma_f64 v[12:13], v[20:21], s[0:1], v[18:19]
	v_fma_f64 v[20:21], v[20:21], s[4:5], v[18:19]
	v_add_f64 v[18:19], v[14:15], v[86:87]
	v_add_f64 v[16:17], v[16:17], v[92:93]
	v_add_f64 v[18:19], v[18:19], v[22:23]
	v_add_f64 v[22:23], v[86:87], v[22:23]
	v_fma_f64 v[22:23], v[22:23], -0.5, v[14:15]
	v_fma_f64 v[14:15], v[28:29], s[4:5], v[22:23]
	v_fma_f64 v[22:23], v[28:29], s[0:1], v[22:23]
	v_add_f64 v[28:29], v[24:25], v[94:95]
	v_fma_f64 v[24:25], v[32:33], s[0:1], v[30:31]
	v_fma_f64 v[32:33], v[32:33], s[4:5], v[30:31]
	v_add_f64 v[30:31], v[26:27], v[148:149]
	v_add_f64 v[28:29], v[28:29], v[150:151]
	v_add_f64 v[30:31], v[30:31], v[34:35]
	v_add_f64 v[34:35], v[148:149], v[34:35]
	;; [unrolled: 10-line block ×3, first 2 shown]
	v_fma_f64 v[46:47], v[46:47], -0.5, v[38:39]
	v_fma_f64 v[38:39], v[48:49], s[4:5], v[46:47]
	v_fma_f64 v[46:47], v[48:49], s[0:1], v[46:47]
	v_add_f64 v[48:49], v[144:145], v[162:163]
	v_fma_f64 v[144:145], v[70:71], s[4:5], v[50:51]
	v_add_f64 v[50:51], v[146:147], v[164:165]
	v_add_f64 v[48:49], v[48:49], v[166:167]
	;; [unrolled: 1-line block ×4, first 2 shown]
	v_fma_f64 v[70:71], v[54:55], -0.5, v[146:147]
	v_fma_f64 v[54:55], v[78:79], s[4:5], v[70:71]
	v_fma_f64 v[146:147], v[78:79], s[0:1], v[70:71]
	v_add_f64 v[70:71], v[152:153], v[168:169]
	v_add_f64 v[78:79], v[64:65], -v[76:77]
	v_add_f64 v[148:149], v[70:71], v[66:67]
	v_add_f64 v[70:71], v[168:169], v[66:67]
	v_add_f64 v[66:67], v[168:169], -v[66:67]
	v_fma_f64 v[70:71], v[70:71], -0.5, v[152:153]
	v_fma_f64 v[152:153], v[78:79], s[0:1], v[70:71]
	v_fma_f64 v[156:157], v[78:79], s[4:5], v[70:71]
	v_add_f64 v[70:71], v[154:155], v[64:65]
	v_add_f64 v[64:65], v[64:65], v[76:77]
	;; [unrolled: 1-line block ×3, first 2 shown]
	v_fma_f64 v[64:65], v[64:65], -0.5, v[154:155]
	v_fma_f64 v[154:155], v[66:67], s[4:5], v[64:65]
	v_fma_f64 v[158:159], v[66:67], s[0:1], v[64:65]
	buffer_load_dword v64, off, s[28:31], 0 offset:304 ; 4-byte Folded Reload
	s_waitcnt vmcnt(0)
	ds_write_b128 v64, v[4:7]
	ds_write_b128 v64, v[0:3] offset:768
	ds_write_b128 v64, v[8:11] offset:1536
	buffer_load_dword v0, off, s[28:31], 0 offset:308 ; 4-byte Folded Reload
	s_waitcnt vmcnt(0)
	ds_write_b128 v0, v[16:19]
	ds_write_b128 v0, v[12:15] offset:768
	ds_write_b128 v0, v[20:23] offset:1536
	;; [unrolled: 5-line block ×6, first 2 shown]
	s_waitcnt lgkmcnt(0)
	; wave barrier
	s_waitcnt lgkmcnt(0)
	ds_read_b128 v[164:167], v68
	ds_read_b128 v[208:211], v68 offset:2304
	ds_read_b128 v[204:207], v68 offset:4608
	;; [unrolled: 1-line block ×13, first 2 shown]
	s_and_saveexec_b64 s[0:1], vcc
	s_cbranch_execz .LBB0_7
; %bb.6:
	ds_read_b128 v[144:147], v68 offset:1792
	ds_read_b128 v[148:151], v68 offset:4096
	;; [unrolled: 1-line block ×7, first 2 shown]
.LBB0_7:
	s_or_b64 exec, exec, s[0:1]
	s_waitcnt lgkmcnt(12)
	v_mul_f64 v[4:5], v[114:115], v[210:211]
	v_mul_f64 v[6:7], v[114:115], v[208:209]
	s_waitcnt lgkmcnt(11)
	v_mul_f64 v[8:9], v[106:107], v[206:207]
	v_mul_f64 v[10:11], v[106:107], v[204:205]
	;; [unrolled: 3-line block ×4, first 2 shown]
	v_mul_f64 v[12:13], v[102:103], v[202:203]
	v_mul_f64 v[14:15], v[102:103], v[200:201]
	v_fma_f64 v[4:5], v[112:113], v[208:209], v[4:5]
	v_fma_f64 v[6:7], v[112:113], v[210:211], -v[6:7]
	v_fma_f64 v[8:9], v[104:105], v[204:205], v[8:9]
	v_fma_f64 v[10:11], v[104:105], v[206:207], -v[10:11]
	v_mul_f64 v[16:17], v[90:91], v[194:195]
	v_mul_f64 v[18:19], v[90:91], v[192:193]
	v_fma_f64 v[20:21], v[128:129], v[188:189], v[20:21]
	v_fma_f64 v[22:23], v[128:129], v[190:191], -v[22:23]
	v_fma_f64 v[24:25], v[124:125], v[184:185], v[24:25]
	v_fma_f64 v[26:27], v[124:125], v[186:187], -v[26:27]
	;; [unrolled: 2-line block ×4, first 2 shown]
	s_waitcnt lgkmcnt(0)
	v_mul_f64 v[48:49], v[74:75], v[2:3]
	v_mul_f64 v[50:51], v[74:75], v[0:1]
	v_add_f64 v[52:53], v[4:5], v[24:25]
	v_add_f64 v[54:55], v[6:7], v[26:27]
	v_add_f64 v[4:5], v[4:5], -v[24:25]
	v_add_f64 v[6:7], v[6:7], -v[26:27]
	v_add_f64 v[24:25], v[8:9], v[20:21]
	v_add_f64 v[26:27], v[10:11], v[22:23]
	v_add_f64 v[8:9], v[8:9], -v[20:21]
	v_add_f64 v[10:11], v[10:11], -v[22:23]
	;; [unrolled: 4-line block ×4, first 2 shown]
	v_add_f64 v[52:53], v[52:53], -v[20:21]
	v_add_f64 v[54:55], v[54:55], -v[22:23]
	;; [unrolled: 1-line block ×4, first 2 shown]
	v_add_f64 v[70:71], v[12:13], v[8:9]
	v_add_f64 v[74:75], v[14:15], v[10:11]
	v_add_f64 v[76:77], v[12:13], -v[8:9]
	v_add_f64 v[78:79], v[14:15], -v[10:11]
	v_add_f64 v[16:17], v[20:21], v[16:17]
	v_add_f64 v[18:19], v[22:23], v[18:19]
	s_mov_b32 s12, 0x37e14327
	s_mov_b32 s4, 0x36b3c0b5
	;; [unrolled: 1-line block ×6, first 2 shown]
	v_add_f64 v[12:13], v[4:5], -v[12:13]
	v_add_f64 v[14:15], v[6:7], -v[14:15]
	;; [unrolled: 1-line block ×4, first 2 shown]
	v_add_f64 v[20:21], v[70:71], v[4:5]
	v_add_f64 v[22:23], v[74:75], v[6:7]
	;; [unrolled: 1-line block ×4, first 2 shown]
	v_mul_f64 v[52:53], v[52:53], s[12:13]
	v_mul_f64 v[54:55], v[54:55], s[12:13]
	;; [unrolled: 1-line block ×6, first 2 shown]
	s_mov_b32 s0, 0x429ad128
	s_mov_b32 s22, 0xaaaaaaaa
	;; [unrolled: 1-line block ×8, first 2 shown]
	v_mul_f64 v[28:29], v[138:139], v[198:199]
	v_mul_f64 v[30:31], v[138:139], v[196:197]
	;; [unrolled: 1-line block ×8, first 2 shown]
	v_fma_f64 v[16:17], v[16:17], s[22:23], v[4:5]
	v_fma_f64 v[18:19], v[18:19], s[22:23], v[6:7]
	;; [unrolled: 1-line block ×4, first 2 shown]
	v_fma_f64 v[70:71], v[64:65], s[6:7], -v[70:71]
	v_fma_f64 v[74:75], v[66:67], s[6:7], -v[74:75]
	;; [unrolled: 1-line block ×6, first 2 shown]
	s_mov_b32 s24, 0xb247c609
	s_mov_b32 s18, 0x37c3f68c
	;; [unrolled: 1-line block ×6, first 2 shown]
	v_fma_f64 v[28:29], v[136:137], v[196:197], v[28:29]
	v_fma_f64 v[30:31], v[136:137], v[198:199], -v[30:31]
	v_mul_f64 v[36:37], v[118:119], v[174:175]
	v_mul_f64 v[38:39], v[118:119], v[172:173]
	v_mul_f64 v[40:41], v[110:111], v[178:179]
	v_mul_f64 v[42:43], v[110:111], v[176:177]
	v_fma_f64 v[32:33], v[120:121], v[168:169], v[32:33]
	v_fma_f64 v[34:35], v[120:121], v[170:171], -v[34:35]
	v_fma_f64 v[44:45], v[132:133], v[180:181], v[44:45]
	v_fma_f64 v[46:47], v[132:133], v[182:183], -v[46:47]
	v_fma_f64 v[64:65], v[12:13], s[24:25], v[76:77]
	v_fma_f64 v[66:67], v[14:15], s[24:25], v[78:79]
	v_fma_f64 v[12:13], v[12:13], s[20:21], -v[80:81]
	v_fma_f64 v[14:15], v[14:15], s[20:21], -v[82:83]
	v_add_f64 v[76:77], v[24:25], v[16:17]
	v_add_f64 v[78:79], v[26:27], v[18:19]
	;; [unrolled: 1-line block ×6, first 2 shown]
	v_fma_f64 v[16:17], v[22:23], s[18:19], v[10:11]
	v_fma_f64 v[18:19], v[20:21], s[18:19], v[8:9]
	;; [unrolled: 1-line block ×3, first 2 shown]
	v_fma_f64 v[50:51], v[72:73], v[2:3], -v[50:51]
	v_fma_f64 v[36:37], v[116:117], v[172:173], v[36:37]
	v_fma_f64 v[38:39], v[116:117], v[174:175], -v[38:39]
	v_fma_f64 v[40:41], v[108:109], v[176:177], v[40:41]
	;; [unrolled: 2-line block ×3, first 2 shown]
	v_fma_f64 v[74:75], v[20:21], s[18:19], v[12:13]
	v_add_f64 v[12:13], v[24:25], -v[16:17]
	v_add_f64 v[14:15], v[18:19], v[26:27]
	v_add_f64 v[16:17], v[16:17], v[24:25]
	v_add_f64 v[18:19], v[26:27], -v[18:19]
	v_add_f64 v[24:25], v[28:29], v[48:49]
	v_add_f64 v[26:27], v[30:31], v[50:51]
	v_add_f64 v[28:29], v[28:29], -v[48:49]
	v_add_f64 v[30:31], v[30:31], -v[50:51]
	v_add_f64 v[48:49], v[32:33], v[44:45]
	v_add_f64 v[50:51], v[34:35], v[46:47]
	v_add_f64 v[32:33], v[32:33], -v[44:45]
	;; [unrolled: 4-line block ×3, first 2 shown]
	v_add_f64 v[38:39], v[42:43], -v[38:39]
	v_add_f64 v[40:41], v[48:49], v[24:25]
	v_add_f64 v[42:43], v[50:51], v[26:27]
	v_fma_f64 v[66:67], v[22:23], s[18:19], v[66:67]
	v_fma_f64 v[64:65], v[20:21], s[18:19], v[64:65]
	v_add_f64 v[8:9], v[70:71], v[52:53]
	v_add_f64 v[10:11], v[54:55], -v[74:75]
	v_add_f64 v[20:21], v[52:53], -v[70:71]
	v_add_f64 v[22:23], v[74:75], v[54:55]
	v_add_f64 v[52:53], v[48:49], -v[24:25]
	v_add_f64 v[54:55], v[50:51], -v[26:27]
	;; [unrolled: 1-line block ×6, first 2 shown]
	v_add_f64 v[24:25], v[36:37], v[32:33]
	v_add_f64 v[26:27], v[38:39], v[34:35]
	v_add_f64 v[74:75], v[36:37], -v[32:33]
	v_add_f64 v[80:81], v[38:39], -v[34:35]
	v_add_f64 v[40:41], v[44:45], v[40:41]
	v_add_f64 v[42:43], v[46:47], v[42:43]
	v_add_f64 v[32:33], v[32:33], -v[28:29]
	v_add_f64 v[34:35], v[34:35], -v[30:31]
	;; [unrolled: 1-line block ×4, first 2 shown]
	v_add_f64 v[28:29], v[24:25], v[28:29]
	v_add_f64 v[30:31], v[26:27], v[30:31]
	;; [unrolled: 1-line block ×4, first 2 shown]
	v_mul_f64 v[44:45], v[70:71], s[12:13]
	v_mul_f64 v[46:47], v[72:73], s[12:13]
	;; [unrolled: 1-line block ×8, first 2 shown]
	v_fma_f64 v[40:41], v[40:41], s[22:23], v[24:25]
	v_fma_f64 v[42:43], v[42:43], s[22:23], v[26:27]
	v_fma_f64 v[48:49], v[48:49], s[4:5], v[44:45]
	v_fma_f64 v[50:51], v[50:51], s[4:5], v[46:47]
	v_fma_f64 v[70:71], v[52:53], s[6:7], -v[70:71]
	v_fma_f64 v[72:73], v[54:55], s[6:7], -v[72:73]
	;; [unrolled: 1-line block ×4, first 2 shown]
	v_fma_f64 v[52:53], v[36:37], s[24:25], v[74:75]
	v_fma_f64 v[54:55], v[38:39], s[24:25], v[80:81]
	v_fma_f64 v[32:33], v[32:33], s[0:1], -v[74:75]
	v_fma_f64 v[34:35], v[34:35], s[0:1], -v[80:81]
	;; [unrolled: 1-line block ×4, first 2 shown]
	v_add_f64 v[74:75], v[48:49], v[40:41]
	v_add_f64 v[80:81], v[50:51], v[42:43]
	;; [unrolled: 1-line block ×6, first 2 shown]
	v_fma_f64 v[54:55], v[30:31], s[18:19], v[54:55]
	v_fma_f64 v[82:83], v[28:29], s[18:19], v[52:53]
	;; [unrolled: 1-line block ×6, first 2 shown]
	v_add_f64 v[0:1], v[66:67], v[76:77]
	v_add_f64 v[2:3], v[78:79], -v[64:65]
	v_add_f64 v[28:29], v[76:77], -v[66:67]
	v_add_f64 v[30:31], v[64:65], v[78:79]
	v_add_f64 v[32:33], v[54:55], v[74:75]
	v_add_f64 v[34:35], v[80:81], -v[82:83]
	v_add_f64 v[36:37], v[52:53], v[70:71]
	v_add_f64 v[38:39], v[72:73], -v[84:85]
	v_add_f64 v[40:41], v[48:49], -v[44:45]
	v_add_f64 v[42:43], v[46:47], v[50:51]
	v_add_f64 v[44:45], v[44:45], v[48:49]
	v_add_f64 v[46:47], v[50:51], -v[46:47]
	v_add_f64 v[48:49], v[70:71], -v[52:53]
	v_add_f64 v[50:51], v[84:85], v[72:73]
	v_add_f64 v[52:53], v[74:75], -v[54:55]
	v_add_f64 v[54:55], v[82:83], v[80:81]
	ds_write_b128 v68, v[4:7]
	ds_write_b128 v68, v[0:3] offset:2304
	ds_write_b128 v68, v[8:11] offset:4608
	;; [unrolled: 1-line block ×13, first 2 shown]
	s_and_saveexec_b64 s[26:27], vcc
	s_cbranch_execz .LBB0_9
; %bb.8:
	buffer_load_dword v24, off, s[28:31], 0 offset:516 ; 4-byte Folded Reload
	buffer_load_dword v25, off, s[28:31], 0 offset:520 ; 4-byte Folded Reload
	;; [unrolled: 1-line block ×16, first 2 shown]
	v_mul_f64 v[8:9], v[98:99], v[60:61]
	v_mul_f64 v[12:13], v[142:143], v[56:57]
	;; [unrolled: 1-line block ×4, first 2 shown]
	v_fma_f64 v[8:9], v[96:97], v[62:63], -v[8:9]
	v_fma_f64 v[12:13], v[140:141], v[58:59], -v[12:13]
	v_fma_f64 v[18:19], v[140:141], v[56:57], v[18:19]
	v_fma_f64 v[6:7], v[96:97], v[60:61], v[6:7]
	s_waitcnt vmcnt(12)
	v_mul_f64 v[0:1], v[26:27], v[234:235]
	s_waitcnt vmcnt(8)
	v_mul_f64 v[2:3], v[30:31], v[158:159]
	;; [unrolled: 2-line block ×4, first 2 shown]
	v_mul_f64 v[16:17], v[34:35], v[154:155]
	v_mul_f64 v[4:5], v[38:39], v[150:151]
	;; [unrolled: 1-line block ×4, first 2 shown]
	v_fma_f64 v[0:1], v[24:25], v[232:233], v[0:1]
	v_fma_f64 v[2:3], v[28:29], v[156:157], v[2:3]
	v_fma_f64 v[10:11], v[36:37], v[150:151], -v[10:11]
	v_fma_f64 v[14:15], v[32:33], v[154:155], -v[14:15]
	v_fma_f64 v[16:17], v[32:33], v[152:153], v[16:17]
	v_fma_f64 v[4:5], v[36:37], v[148:149], v[4:5]
	v_fma_f64 v[20:21], v[28:29], v[158:159], -v[20:21]
	v_fma_f64 v[22:23], v[24:25], v[234:235], -v[22:23]
	v_add_f64 v[28:29], v[0:1], -v[2:3]
	v_add_f64 v[24:25], v[10:11], v[8:9]
	v_add_f64 v[26:27], v[14:15], v[12:13]
	v_add_f64 v[30:31], v[16:17], -v[18:19]
	v_add_f64 v[36:37], v[4:5], -v[6:7]
	v_add_f64 v[4:5], v[4:5], v[6:7]
	v_add_f64 v[32:33], v[20:21], v[22:23]
	;; [unrolled: 1-line block ×4, first 2 shown]
	v_add_f64 v[20:21], v[22:23], -v[20:21]
	v_add_f64 v[34:35], v[26:27], v[24:25]
	v_add_f64 v[38:39], v[28:29], -v[30:31]
	v_add_f64 v[12:13], v[14:15], -v[12:13]
	;; [unrolled: 1-line block ×4, first 2 shown]
	v_add_f64 v[40:41], v[16:17], v[4:5]
	v_add_f64 v[10:11], v[4:5], -v[42:43]
	v_add_f64 v[14:15], v[30:31], -v[36:37]
	v_add_f64 v[18:19], v[32:33], v[34:35]
	v_add_f64 v[34:35], v[36:37], -v[28:29]
	v_mul_f64 v[38:39], v[38:39], s[14:15]
	v_add_f64 v[28:29], v[28:29], v[30:31]
	v_mul_f64 v[44:45], v[6:7], s[12:13]
	v_add_f64 v[6:7], v[32:33], -v[26:27]
	v_add_f64 v[32:33], v[42:43], v[40:41]
	v_add_f64 v[48:49], v[12:13], -v[8:9]
	v_add_f64 v[2:3], v[146:147], v[18:19]
	v_add_f64 v[22:23], v[42:43], -v[16:17]
	v_fma_f64 v[40:41], v[34:35], s[24:25], v[38:39]
	v_add_f64 v[28:29], v[28:29], v[36:37]
	v_add_f64 v[24:25], v[26:27], -v[24:25]
	v_fma_f64 v[46:47], v[6:7], s[4:5], v[44:45]
	v_add_f64 v[0:1], v[144:145], v[32:33]
	v_mul_f64 v[26:27], v[6:7], s[4:5]
	v_fma_f64 v[18:19], v[18:19], s[22:23], v[2:3]
	v_mul_f64 v[10:11], v[10:11], s[12:13]
	v_mul_f64 v[42:43], v[14:15], s[0:1]
	v_fma_f64 v[30:31], v[28:29], s[18:19], v[40:41]
	v_add_f64 v[40:41], v[20:21], -v[12:13]
	v_add_f64 v[12:13], v[20:21], v[12:13]
	v_add_f64 v[4:5], v[16:17], -v[4:5]
	v_mul_f64 v[16:17], v[48:49], s[0:1]
	v_add_f64 v[36:37], v[46:47], v[18:19]
	v_add_f64 v[46:47], v[8:9], -v[20:21]
	v_mul_f64 v[20:21], v[22:23], s[4:5]
	v_fma_f64 v[32:33], v[32:33], s[22:23], v[0:1]
	v_mul_f64 v[40:41], v[40:41], s[14:15]
	v_fma_f64 v[22:23], v[22:23], s[4:5], v[10:11]
	v_fma_f64 v[34:35], v[34:35], s[20:21], -v[42:43]
	v_fma_f64 v[42:43], v[24:25], s[16:17], -v[44:45]
	v_add_f64 v[8:9], v[12:13], v[8:9]
	v_fma_f64 v[12:13], v[24:25], s[6:7], -v[26:27]
	v_fma_f64 v[14:15], v[14:15], s[0:1], -v[38:39]
	;; [unrolled: 1-line block ×3, first 2 shown]
	v_fma_f64 v[44:45], v[46:47], s[24:25], v[40:41]
	v_fma_f64 v[16:17], v[46:47], s[20:21], -v[16:17]
	v_fma_f64 v[4:5], v[4:5], s[6:7], -v[20:21]
	;; [unrolled: 1-line block ×3, first 2 shown]
	v_fma_f64 v[24:25], v[28:29], s[18:19], v[34:35]
	v_add_f64 v[26:27], v[42:43], v[18:19]
	v_add_f64 v[12:13], v[12:13], v[18:19]
	v_fma_f64 v[18:19], v[28:29], s[18:19], v[14:15]
	v_add_f64 v[28:29], v[22:23], v[32:33]
	v_fma_f64 v[34:35], v[8:9], s[18:19], v[44:45]
	;; [unrolled: 2-line block ×4, first 2 shown]
	v_add_f64 v[10:11], v[24:25], v[26:27]
	v_add_f64 v[22:23], v[26:27], -v[24:25]
	v_add_f64 v[26:27], v[36:37], -v[30:31]
	v_add_f64 v[24:25], v[34:35], v[28:29]
	v_add_f64 v[14:15], v[12:13], -v[18:19]
	v_add_f64 v[20:21], v[40:41], v[38:39]
	v_add_f64 v[18:19], v[18:19], v[12:13]
	v_add_f64 v[16:17], v[4:5], -v[8:9]
	v_add_f64 v[12:13], v[8:9], v[4:5]
	v_add_f64 v[8:9], v[38:39], -v[40:41]
	;; [unrolled: 2-line block ×3, first 2 shown]
	ds_write_b128 v68, v[0:3] offset:1792
	ds_write_b128 v68, v[24:27] offset:4096
	;; [unrolled: 1-line block ×7, first 2 shown]
.LBB0_9:
	s_or_b64 exec, exec, s[26:27]
	s_waitcnt lgkmcnt(0)
	; wave barrier
	s_waitcnt lgkmcnt(0)
	ds_read_b128 v[0:3], v68
	ds_read_b128 v[4:7], v68 offset:896
	buffer_load_dword v20, off, s[28:31], 0 offset:120 ; 4-byte Folded Reload
	buffer_load_dword v21, off, s[28:31], 0 offset:124 ; 4-byte Folded Reload
	;; [unrolled: 1-line block ×6, first 2 shown]
	v_mad_u64_u32 v[18:19], s[0:1], s8, v69, 0
	v_mov_b32_e32 v24, s3
	s_mul_hi_u32 s3, s8, 0x1f80
	s_waitcnt vmcnt(2) lgkmcnt(1)
	v_mul_f64 v[8:9], v[22:23], v[2:3]
	s_waitcnt vmcnt(1)
	v_mov_b32_e32 v13, v10
	s_waitcnt vmcnt(0)
	v_mul_f64 v[10:11], v[22:23], v[0:1]
	v_mad_u64_u32 v[16:17], s[0:1], s10, v13, 0
	v_mov_b32_e32 v12, v17
	v_fma_f64 v[0:1], v[20:21], v[0:1], v[8:9]
	v_mad_u64_u32 v[8:9], s[0:1], s11, v13, v[12:13]
	v_mov_b32_e32 v9, v19
	v_mad_u64_u32 v[12:13], s[4:5], s9, v69, v[9:10]
	v_fma_f64 v[2:3], v[20:21], v[2:3], -v[10:11]
	v_mov_b32_e32 v17, v8
	ds_read_b128 v[8:11], v68 offset:8064
	v_mov_b32_e32 v19, v12
	ds_read_b128 v[12:15], v68 offset:7168
	buffer_load_dword v25, off, s[28:31], 0 ; 4-byte Folded Reload
	buffer_load_dword v26, off, s[28:31], 0 offset:4 ; 4-byte Folded Reload
	buffer_load_dword v27, off, s[28:31], 0 offset:8 ; 4-byte Folded Reload
	;; [unrolled: 1-line block ×3, first 2 shown]
	s_mov_b32 s0, 0x10410410
	s_mov_b32 s1, 0x3f504104
	v_mul_f64 v[0:1], v[0:1], s[0:1]
	v_mul_f64 v[2:3], v[2:3], s[0:1]
	v_lshlrev_b64 v[16:17], 4, v[16:17]
	s_mul_hi_u32 s5, s8, 0xffffe400
	v_add_co_u32_e32 v30, vcc, s2, v16
	v_addc_co_u32_e32 v31, vcc, v24, v17, vcc
	v_lshlrev_b64 v[16:17], 4, v[18:19]
	s_mul_i32 s2, s9, 0x1f80
	v_add_co_u32_e32 v16, vcc, v30, v16
	v_addc_co_u32_e32 v17, vcc, v31, v17, vcc
	global_store_dwordx4 v[16:17], v[0:3], off
	s_add_i32 s2, s3, s2
	s_mul_i32 s3, s8, 0x1f80
	s_mul_i32 s4, s9, 0xffffe400
	s_sub_i32 s5, s5, s8
	s_add_i32 s4, s5, s4
	s_mul_i32 s5, s8, 0xffffe400
	v_mov_b32_e32 v32, s4
	s_waitcnt vmcnt(1) lgkmcnt(1)
	v_mul_f64 v[20:21], v[27:28], v[10:11]
	v_mul_f64 v[22:23], v[27:28], v[8:9]
	v_fma_f64 v[8:9], v[25:26], v[8:9], v[20:21]
	v_fma_f64 v[10:11], v[25:26], v[10:11], -v[22:23]
	buffer_load_dword v20, off, s[28:31], 0 offset:16 ; 4-byte Folded Reload
	buffer_load_dword v21, off, s[28:31], 0 offset:20 ; 4-byte Folded Reload
	buffer_load_dword v22, off, s[28:31], 0 offset:24 ; 4-byte Folded Reload
	buffer_load_dword v23, off, s[28:31], 0 offset:28 ; 4-byte Folded Reload
	v_mul_f64 v[0:1], v[8:9], s[0:1]
	v_mul_f64 v[2:3], v[10:11], s[0:1]
	v_mov_b32_e32 v10, s2
	s_waitcnt vmcnt(0)
	v_mul_f64 v[8:9], v[22:23], v[6:7]
	v_mul_f64 v[18:19], v[22:23], v[4:5]
	v_fma_f64 v[4:5], v[20:21], v[4:5], v[8:9]
	v_fma_f64 v[6:7], v[20:21], v[6:7], -v[18:19]
	v_add_co_u32_e32 v20, vcc, s3, v16
	v_addc_co_u32_e32 v21, vcc, v17, v10, vcc
	global_store_dwordx4 v[20:21], v[0:3], off
	ds_read_b128 v[0:3], v68 offset:8960
	ds_read_b128 v[8:11], v68 offset:9856
	buffer_load_dword v26, off, s[28:31], 0 offset:80 ; 4-byte Folded Reload
	buffer_load_dword v27, off, s[28:31], 0 offset:84 ; 4-byte Folded Reload
	;; [unrolled: 1-line block ×4, first 2 shown]
	ds_read_b128 v[16:19], v68 offset:1792
	v_mul_f64 v[4:5], v[4:5], s[0:1]
	v_mul_f64 v[6:7], v[6:7], s[0:1]
	v_add_co_u32_e32 v20, vcc, s5, v20
	v_addc_co_u32_e32 v21, vcc, v21, v32, vcc
	v_mov_b32_e32 v32, s2
	s_waitcnt vmcnt(0) lgkmcnt(2)
	v_mul_f64 v[22:23], v[28:29], v[2:3]
	v_mul_f64 v[24:25], v[28:29], v[0:1]
	v_fma_f64 v[22:23], v[26:27], v[0:1], v[22:23]
	v_fma_f64 v[24:25], v[26:27], v[2:3], -v[24:25]
	ds_read_b128 v[0:3], v68 offset:2688
	buffer_load_dword v33, off, s[28:31], 0 offset:32 ; 4-byte Folded Reload
	buffer_load_dword v34, off, s[28:31], 0 offset:36 ; 4-byte Folded Reload
	buffer_load_dword v35, off, s[28:31], 0 offset:40 ; 4-byte Folded Reload
	buffer_load_dword v36, off, s[28:31], 0 offset:44 ; 4-byte Folded Reload
	s_waitcnt vmcnt(0) lgkmcnt(1)
	v_mul_f64 v[26:27], v[35:36], v[18:19]
	v_mul_f64 v[28:29], v[35:36], v[16:17]
	global_store_dwordx4 v[20:21], v[4:7], off
	v_add_co_u32_e32 v20, vcc, s3, v20
	v_mul_f64 v[4:5], v[22:23], s[0:1]
	v_mul_f64 v[6:7], v[24:25], s[0:1]
	v_addc_co_u32_e32 v21, vcc, v21, v32, vcc
	v_fma_f64 v[16:17], v[33:34], v[16:17], v[26:27]
	v_fma_f64 v[18:19], v[33:34], v[18:19], -v[28:29]
	buffer_load_dword v33, off, s[28:31], 0 offset:64 ; 4-byte Folded Reload
	buffer_load_dword v34, off, s[28:31], 0 offset:68 ; 4-byte Folded Reload
	;; [unrolled: 1-line block ×4, first 2 shown]
	v_mov_b32_e32 v26, s4
	v_mov_b32_e32 v32, s4
	global_store_dwordx4 v[20:21], v[4:7], off
	v_add_co_u32_e32 v20, vcc, s5, v20
	v_mul_f64 v[4:5], v[16:17], s[0:1]
	v_mul_f64 v[6:7], v[18:19], s[0:1]
	v_addc_co_u32_e32 v21, vcc, v21, v26, vcc
	v_mov_b32_e32 v26, s2
	s_waitcnt vmcnt(1)
	v_mul_f64 v[22:23], v[35:36], v[10:11]
	v_mul_f64 v[24:25], v[35:36], v[8:9]
	v_fma_f64 v[8:9], v[33:34], v[8:9], v[22:23]
	v_fma_f64 v[10:11], v[33:34], v[10:11], -v[24:25]
	buffer_load_dword v22, off, s[28:31], 0 offset:48 ; 4-byte Folded Reload
	buffer_load_dword v23, off, s[28:31], 0 offset:52 ; 4-byte Folded Reload
	;; [unrolled: 1-line block ×4, first 2 shown]
	s_waitcnt vmcnt(0) lgkmcnt(0)
	v_mul_f64 v[16:17], v[24:25], v[2:3]
	v_mul_f64 v[18:19], v[24:25], v[0:1]
	global_store_dwordx4 v[20:21], v[4:7], off
	v_add_co_u32_e32 v20, vcc, s3, v20
	v_mul_f64 v[4:5], v[8:9], s[0:1]
	v_mul_f64 v[6:7], v[10:11], s[0:1]
	ds_read_b128 v[8:11], v68 offset:10752
	v_fma_f64 v[16:17], v[22:23], v[0:1], v[16:17]
	v_fma_f64 v[18:19], v[22:23], v[2:3], -v[18:19]
	ds_read_b128 v[0:3], v68 offset:11648
	buffer_load_dword v33, off, s[28:31], 0 offset:272 ; 4-byte Folded Reload
	buffer_load_dword v34, off, s[28:31], 0 offset:276 ; 4-byte Folded Reload
	;; [unrolled: 1-line block ×4, first 2 shown]
	v_addc_co_u32_e32 v21, vcc, v21, v26, vcc
	global_store_dwordx4 v[20:21], v[4:7], off
	v_add_co_u32_e32 v20, vcc, s5, v20
	v_mul_f64 v[4:5], v[16:17], s[0:1]
	v_mul_f64 v[6:7], v[18:19], s[0:1]
	ds_read_b128 v[16:19], v68 offset:3584
	v_addc_co_u32_e32 v21, vcc, v21, v32, vcc
	v_mov_b32_e32 v32, s2
	s_waitcnt vmcnt(1) lgkmcnt(2)
	v_mul_f64 v[22:23], v[35:36], v[10:11]
	v_mul_f64 v[24:25], v[35:36], v[8:9]
	v_fma_f64 v[22:23], v[33:34], v[8:9], v[22:23]
	v_fma_f64 v[24:25], v[33:34], v[10:11], -v[24:25]
	ds_read_b128 v[8:11], v68 offset:4480
	buffer_load_dword v33, off, s[28:31], 0 offset:176 ; 4-byte Folded Reload
	buffer_load_dword v34, off, s[28:31], 0 offset:180 ; 4-byte Folded Reload
	;; [unrolled: 1-line block ×4, first 2 shown]
	s_waitcnt vmcnt(0) lgkmcnt(1)
	v_mul_f64 v[26:27], v[35:36], v[18:19]
	v_mul_f64 v[28:29], v[35:36], v[16:17]
	global_store_dwordx4 v[20:21], v[4:7], off
	v_add_co_u32_e32 v20, vcc, s3, v20
	v_mul_f64 v[4:5], v[22:23], s[0:1]
	v_mul_f64 v[6:7], v[24:25], s[0:1]
	v_addc_co_u32_e32 v21, vcc, v21, v32, vcc
	v_fma_f64 v[16:17], v[33:34], v[16:17], v[26:27]
	v_fma_f64 v[18:19], v[33:34], v[18:19], -v[28:29]
	buffer_load_dword v33, off, s[28:31], 0 offset:160 ; 4-byte Folded Reload
	buffer_load_dword v34, off, s[28:31], 0 offset:164 ; 4-byte Folded Reload
	;; [unrolled: 1-line block ×4, first 2 shown]
	v_mov_b32_e32 v26, s4
	v_mov_b32_e32 v32, s4
	global_store_dwordx4 v[20:21], v[4:7], off
	v_add_co_u32_e32 v20, vcc, s5, v20
	v_mul_f64 v[4:5], v[16:17], s[0:1]
	v_mul_f64 v[6:7], v[18:19], s[0:1]
	v_addc_co_u32_e32 v21, vcc, v21, v26, vcc
	v_mov_b32_e32 v26, s2
	s_waitcnt vmcnt(1)
	v_mul_f64 v[22:23], v[35:36], v[2:3]
	v_mul_f64 v[24:25], v[35:36], v[0:1]
	v_fma_f64 v[0:1], v[33:34], v[0:1], v[22:23]
	v_fma_f64 v[2:3], v[33:34], v[2:3], -v[24:25]
	buffer_load_dword v22, off, s[28:31], 0 offset:224 ; 4-byte Folded Reload
	buffer_load_dword v23, off, s[28:31], 0 offset:228 ; 4-byte Folded Reload
	;; [unrolled: 1-line block ×4, first 2 shown]
	v_mul_f64 v[0:1], v[0:1], s[0:1]
	global_store_dwordx4 v[20:21], v[4:7], off
	ds_read_b128 v[4:7], v68 offset:12544
	v_mul_f64 v[2:3], v[2:3], s[0:1]
	v_add_co_u32_e32 v20, vcc, s3, v20
	v_addc_co_u32_e32 v21, vcc, v21, v26, vcc
	s_waitcnt vmcnt(1) lgkmcnt(1)
	v_mul_f64 v[16:17], v[24:25], v[10:11]
	v_mul_f64 v[18:19], v[24:25], v[8:9]
	v_fma_f64 v[16:17], v[22:23], v[8:9], v[16:17]
	v_fma_f64 v[18:19], v[22:23], v[10:11], -v[18:19]
	ds_read_b128 v[8:11], v68 offset:13440
	buffer_load_dword v33, off, s[28:31], 0 offset:288 ; 4-byte Folded Reload
	buffer_load_dword v34, off, s[28:31], 0 offset:292 ; 4-byte Folded Reload
	;; [unrolled: 1-line block ×4, first 2 shown]
	s_waitcnt vmcnt(0) lgkmcnt(1)
	v_mul_f64 v[22:23], v[35:36], v[6:7]
	v_mul_f64 v[24:25], v[35:36], v[4:5]
	global_store_dwordx4 v[20:21], v[0:3], off
	v_add_co_u32_e32 v20, vcc, s5, v20
	v_mul_f64 v[0:1], v[16:17], s[0:1]
	v_mul_f64 v[2:3], v[18:19], s[0:1]
	ds_read_b128 v[16:19], v68 offset:5376
	v_fma_f64 v[22:23], v[33:34], v[4:5], v[22:23]
	v_fma_f64 v[24:25], v[33:34], v[6:7], -v[24:25]
	ds_read_b128 v[4:7], v68 offset:6272
	buffer_load_dword v33, off, s[28:31], 0 offset:144 ; 4-byte Folded Reload
	buffer_load_dword v34, off, s[28:31], 0 offset:148 ; 4-byte Folded Reload
	;; [unrolled: 1-line block ×4, first 2 shown]
	v_addc_co_u32_e32 v21, vcc, v21, v32, vcc
	global_store_dwordx4 v[20:21], v[0:3], off
	v_mov_b32_e32 v32, s2
	v_mul_f64 v[0:1], v[22:23], s[0:1]
	v_mul_f64 v[2:3], v[24:25], s[0:1]
	v_add_co_u32_e32 v20, vcc, s3, v20
	v_addc_co_u32_e32 v21, vcc, v21, v32, vcc
	s_waitcnt vmcnt(1) lgkmcnt(1)
	v_mul_f64 v[26:27], v[35:36], v[18:19]
	v_mul_f64 v[28:29], v[35:36], v[16:17]
	v_fma_f64 v[16:17], v[33:34], v[16:17], v[26:27]
	v_fma_f64 v[18:19], v[33:34], v[18:19], -v[28:29]
	buffer_load_dword v33, off, s[28:31], 0 offset:192 ; 4-byte Folded Reload
	buffer_load_dword v34, off, s[28:31], 0 offset:196 ; 4-byte Folded Reload
	;; [unrolled: 1-line block ×4, first 2 shown]
	v_mov_b32_e32 v26, s4
	global_store_dwordx4 v[20:21], v[0:3], off
	v_add_co_u32_e32 v20, vcc, s5, v20
	v_addc_co_u32_e32 v21, vcc, v21, v26, vcc
	v_mul_f64 v[0:1], v[16:17], s[0:1]
	v_mul_f64 v[2:3], v[18:19], s[0:1]
	v_mov_b32_e32 v26, s2
	s_waitcnt vmcnt(1)
	v_mul_f64 v[22:23], v[35:36], v[10:11]
	v_mul_f64 v[24:25], v[35:36], v[8:9]
	v_fma_f64 v[8:9], v[33:34], v[8:9], v[22:23]
	v_fma_f64 v[10:11], v[33:34], v[10:11], -v[24:25]
	buffer_load_dword v22, off, s[28:31], 0 offset:104 ; 4-byte Folded Reload
	buffer_load_dword v23, off, s[28:31], 0 offset:108 ; 4-byte Folded Reload
	;; [unrolled: 1-line block ×4, first 2 shown]
	s_waitcnt vmcnt(0) lgkmcnt(0)
	v_mul_f64 v[16:17], v[24:25], v[6:7]
	v_mul_f64 v[18:19], v[24:25], v[4:5]
	global_store_dwordx4 v[20:21], v[0:3], off
	v_add_co_u32_e32 v20, vcc, s3, v20
	v_mul_f64 v[0:1], v[8:9], s[0:1]
	v_mul_f64 v[2:3], v[10:11], s[0:1]
	ds_read_b128 v[8:11], v68 offset:14336
	v_fma_f64 v[16:17], v[22:23], v[4:5], v[16:17]
	v_fma_f64 v[18:19], v[22:23], v[6:7], -v[18:19]
	ds_read_b128 v[4:7], v68 offset:15232
	buffer_load_dword v32, off, s[28:31], 0 offset:208 ; 4-byte Folded Reload
	buffer_load_dword v33, off, s[28:31], 0 offset:212 ; 4-byte Folded Reload
	;; [unrolled: 1-line block ×4, first 2 shown]
	v_addc_co_u32_e32 v21, vcc, v21, v26, vcc
	global_store_dwordx4 v[20:21], v[0:3], off
	s_waitcnt vmcnt(1) lgkmcnt(1)
	v_mul_f64 v[22:23], v[34:35], v[10:11]
	v_mul_f64 v[24:25], v[34:35], v[8:9]
	v_mul_f64 v[0:1], v[16:17], s[0:1]
	v_mul_f64 v[2:3], v[18:19], s[0:1]
	v_mov_b32_e32 v19, s4
	v_add_co_u32_e32 v18, vcc, s5, v20
	v_addc_co_u32_e32 v19, vcc, v21, v19, vcc
	v_fma_f64 v[8:9], v[32:33], v[8:9], v[22:23]
	buffer_load_dword v22, off, s[28:31], 0 offset:136 ; 4-byte Folded Reload
	v_fma_f64 v[10:11], v[32:33], v[10:11], -v[24:25]
	global_store_dwordx4 v[18:19], v[0:3], off
	buffer_load_dword v32, off, s[28:31], 0 offset:240 ; 4-byte Folded Reload
	buffer_load_dword v33, off, s[28:31], 0 offset:244 ; 4-byte Folded Reload
	;; [unrolled: 1-line block ×4, first 2 shown]
	v_mul_f64 v[2:3], v[10:11], s[0:1]
	s_waitcnt vmcnt(5)
	v_mad_u64_u32 v[16:17], s[2:3], s8, v22, 0
	s_waitcnt vmcnt(0)
	v_mul_f64 v[10:11], v[34:35], v[14:15]
	v_mov_b32_e32 v0, v17
	v_mad_u64_u32 v[20:21], s[2:3], s9, v22, v[0:1]
	v_mul_f64 v[0:1], v[8:9], s[0:1]
	v_mov_b32_e32 v17, v20
	v_lshlrev_b64 v[8:9], 4, v[16:17]
	v_mul_f64 v[16:17], v[34:35], v[12:13]
	buffer_load_dword v34, off, s[28:31], 0 offset:256 ; 4-byte Folded Reload
	buffer_load_dword v35, off, s[28:31], 0 offset:260 ; 4-byte Folded Reload
	;; [unrolled: 1-line block ×5, first 2 shown]
	v_fma_f64 v[10:11], v[32:33], v[12:13], v[10:11]
	v_add_co_u32_e32 v8, vcc, v30, v8
	v_addc_co_u32_e32 v9, vcc, v31, v9, vcc
	v_fma_f64 v[12:13], v[32:33], v[14:15], -v[16:17]
	global_store_dwordx4 v[8:9], v[0:3], off
	s_waitcnt vmcnt(2) lgkmcnt(0)
	v_mul_f64 v[20:21], v[36:37], v[6:7]
	v_mul_f64 v[22:23], v[36:37], v[4:5]
	s_waitcnt vmcnt(1)
	v_mad_u64_u32 v[24:25], s[2:3], s8, v26, 0
	v_mul_f64 v[2:3], v[12:13], s[0:1]
	v_mov_b32_e32 v0, v25
	v_mad_u64_u32 v[8:9], s[2:3], s9, v26, v[0:1]
	v_fma_f64 v[4:5], v[34:35], v[4:5], v[20:21]
	v_fma_f64 v[6:7], v[34:35], v[6:7], -v[22:23]
	v_mul_f64 v[0:1], v[10:11], s[0:1]
	v_mov_b32_e32 v10, 0x2300
	v_mov_b32_e32 v25, v8
	v_lshlrev_b64 v[8:9], 4, v[24:25]
	v_add_co_u32_e32 v8, vcc, v30, v8
	v_mul_f64 v[4:5], v[4:5], s[0:1]
	v_mul_f64 v[6:7], v[6:7], s[0:1]
	v_mad_u64_u32 v[10:11], s[0:1], s8, v10, v[18:19]
	s_mul_i32 s0, s9, 0x2300
	v_addc_co_u32_e32 v9, vcc, v31, v9, vcc
	v_add_u32_e32 v11, s0, v11
	global_store_dwordx4 v[8:9], v[0:3], off
	global_store_dwordx4 v[10:11], v[4:7], off
.LBB0_10:
	s_endpgm
	.section	.rodata,"a",@progbits
	.p2align	6, 0x0
	.amdhsa_kernel bluestein_single_back_len1008_dim1_dp_op_CI_CI
		.amdhsa_group_segment_fixed_size 16128
		.amdhsa_private_segment_fixed_size 584
		.amdhsa_kernarg_size 104
		.amdhsa_user_sgpr_count 6
		.amdhsa_user_sgpr_private_segment_buffer 1
		.amdhsa_user_sgpr_dispatch_ptr 0
		.amdhsa_user_sgpr_queue_ptr 0
		.amdhsa_user_sgpr_kernarg_segment_ptr 1
		.amdhsa_user_sgpr_dispatch_id 0
		.amdhsa_user_sgpr_flat_scratch_init 0
		.amdhsa_user_sgpr_private_segment_size 0
		.amdhsa_uses_dynamic_stack 0
		.amdhsa_system_sgpr_private_segment_wavefront_offset 1
		.amdhsa_system_sgpr_workgroup_id_x 1
		.amdhsa_system_sgpr_workgroup_id_y 0
		.amdhsa_system_sgpr_workgroup_id_z 0
		.amdhsa_system_sgpr_workgroup_info 0
		.amdhsa_system_vgpr_workitem_id 0
		.amdhsa_next_free_vgpr 256
		.amdhsa_next_free_sgpr 32
		.amdhsa_reserve_vcc 1
		.amdhsa_reserve_flat_scratch 0
		.amdhsa_float_round_mode_32 0
		.amdhsa_float_round_mode_16_64 0
		.amdhsa_float_denorm_mode_32 3
		.amdhsa_float_denorm_mode_16_64 3
		.amdhsa_dx10_clamp 1
		.amdhsa_ieee_mode 1
		.amdhsa_fp16_overflow 0
		.amdhsa_exception_fp_ieee_invalid_op 0
		.amdhsa_exception_fp_denorm_src 0
		.amdhsa_exception_fp_ieee_div_zero 0
		.amdhsa_exception_fp_ieee_overflow 0
		.amdhsa_exception_fp_ieee_underflow 0
		.amdhsa_exception_fp_ieee_inexact 0
		.amdhsa_exception_int_div_zero 0
	.end_amdhsa_kernel
	.text
.Lfunc_end0:
	.size	bluestein_single_back_len1008_dim1_dp_op_CI_CI, .Lfunc_end0-bluestein_single_back_len1008_dim1_dp_op_CI_CI
                                        ; -- End function
	.section	.AMDGPU.csdata,"",@progbits
; Kernel info:
; codeLenInByte = 26788
; NumSgprs: 36
; NumVgprs: 256
; ScratchSize: 584
; MemoryBound: 0
; FloatMode: 240
; IeeeMode: 1
; LDSByteSize: 16128 bytes/workgroup (compile time only)
; SGPRBlocks: 4
; VGPRBlocks: 63
; NumSGPRsForWavesPerEU: 36
; NumVGPRsForWavesPerEU: 256
; Occupancy: 1
; WaveLimiterHint : 1
; COMPUTE_PGM_RSRC2:SCRATCH_EN: 1
; COMPUTE_PGM_RSRC2:USER_SGPR: 6
; COMPUTE_PGM_RSRC2:TRAP_HANDLER: 0
; COMPUTE_PGM_RSRC2:TGID_X_EN: 1
; COMPUTE_PGM_RSRC2:TGID_Y_EN: 0
; COMPUTE_PGM_RSRC2:TGID_Z_EN: 0
; COMPUTE_PGM_RSRC2:TIDIG_COMP_CNT: 0
	.type	__hip_cuid_a24518d381c7e1d2,@object ; @__hip_cuid_a24518d381c7e1d2
	.section	.bss,"aw",@nobits
	.globl	__hip_cuid_a24518d381c7e1d2
__hip_cuid_a24518d381c7e1d2:
	.byte	0                               ; 0x0
	.size	__hip_cuid_a24518d381c7e1d2, 1

	.ident	"AMD clang version 19.0.0git (https://github.com/RadeonOpenCompute/llvm-project roc-6.4.0 25133 c7fe45cf4b819c5991fe208aaa96edf142730f1d)"
	.section	".note.GNU-stack","",@progbits
	.addrsig
	.addrsig_sym __hip_cuid_a24518d381c7e1d2
	.amdgpu_metadata
---
amdhsa.kernels:
  - .args:
      - .actual_access:  read_only
        .address_space:  global
        .offset:         0
        .size:           8
        .value_kind:     global_buffer
      - .actual_access:  read_only
        .address_space:  global
        .offset:         8
        .size:           8
        .value_kind:     global_buffer
      - .actual_access:  read_only
        .address_space:  global
        .offset:         16
        .size:           8
        .value_kind:     global_buffer
      - .actual_access:  read_only
        .address_space:  global
        .offset:         24
        .size:           8
        .value_kind:     global_buffer
      - .actual_access:  read_only
        .address_space:  global
        .offset:         32
        .size:           8
        .value_kind:     global_buffer
      - .offset:         40
        .size:           8
        .value_kind:     by_value
      - .address_space:  global
        .offset:         48
        .size:           8
        .value_kind:     global_buffer
      - .address_space:  global
        .offset:         56
        .size:           8
        .value_kind:     global_buffer
      - .address_space:  global
        .offset:         64
        .size:           8
        .value_kind:     global_buffer
      - .address_space:  global
        .offset:         72
        .size:           8
        .value_kind:     global_buffer
      - .offset:         80
        .size:           4
        .value_kind:     by_value
      - .address_space:  global
        .offset:         88
        .size:           8
        .value_kind:     global_buffer
      - .address_space:  global
        .offset:         96
        .size:           8
        .value_kind:     global_buffer
    .group_segment_fixed_size: 16128
    .kernarg_segment_align: 8
    .kernarg_segment_size: 104
    .language:       OpenCL C
    .language_version:
      - 2
      - 0
    .max_flat_workgroup_size: 56
    .name:           bluestein_single_back_len1008_dim1_dp_op_CI_CI
    .private_segment_fixed_size: 584
    .sgpr_count:     36
    .sgpr_spill_count: 0
    .symbol:         bluestein_single_back_len1008_dim1_dp_op_CI_CI.kd
    .uniform_work_group_size: 1
    .uses_dynamic_stack: false
    .vgpr_count:     256
    .vgpr_spill_count: 145
    .wavefront_size: 64
amdhsa.target:   amdgcn-amd-amdhsa--gfx906
amdhsa.version:
  - 1
  - 2
...

	.end_amdgpu_metadata
